;; amdgpu-corpus repo=ROCm/rocFFT kind=compiled arch=gfx1030 opt=O3
	.text
	.amdgcn_target "amdgcn-amd-amdhsa--gfx1030"
	.amdhsa_code_object_version 6
	.protected	bluestein_single_fwd_len2002_dim1_sp_op_CI_CI ; -- Begin function bluestein_single_fwd_len2002_dim1_sp_op_CI_CI
	.globl	bluestein_single_fwd_len2002_dim1_sp_op_CI_CI
	.p2align	8
	.type	bluestein_single_fwd_len2002_dim1_sp_op_CI_CI,@function
bluestein_single_fwd_len2002_dim1_sp_op_CI_CI: ; @bluestein_single_fwd_len2002_dim1_sp_op_CI_CI
; %bb.0:
	s_load_dwordx4 s[8:11], s[4:5], 0x28
	v_mul_u32_u24_e32 v1, 0x169, v0
	v_mov_b32_e32 v105, 0
	s_mov_b32 s0, exec_lo
	v_lshrrev_b32_e32 v1, 16, v1
	v_add_nc_u32_e32 v104, s6, v1
	s_waitcnt lgkmcnt(0)
	v_cmpx_gt_u64_e64 s[8:9], v[104:105]
	s_cbranch_execz .LBB0_31
; %bb.1:
	s_clause 0x1
	s_load_dwordx4 s[0:3], s[4:5], 0x18
	s_load_dwordx2 s[6:7], s[4:5], 0x0
	v_mul_lo_u16 v1, 0xb6, v1
	v_sub_nc_u16 v28, v0, v1
	v_and_b32_e32 v134, 0xffff, v28
	v_lshlrev_b32_e32 v133, 3, v134
	s_waitcnt lgkmcnt(0)
	s_load_dwordx4 s[12:15], s[0:1], 0x0
	s_clause 0x1
	global_load_dwordx2 v[113:114], v133, s[6:7]
	global_load_dwordx2 v[109:110], v133, s[6:7] offset:1456
	v_add_co_u32 v76, s0, s6, v133
	v_add_co_ci_u32_e64 v77, null, s7, 0, s0
	v_add_nc_u32_e32 v29, 0x2400, v133
	v_add_co_u32 v96, vcc_lo, 0x1800, v76
	v_add_co_ci_u32_e32 v97, vcc_lo, 0, v77, vcc_lo
	v_add_co_u32 v0, vcc_lo, 0x2000, v76
	v_add_co_ci_u32_e32 v1, vcc_lo, 0, v77, vcc_lo
	;; [unrolled: 2-line block ×3, first 2 shown]
	v_add_co_u32 v4, vcc_lo, 0x2800, v76
	s_waitcnt lgkmcnt(0)
	v_mad_u64_u32 v[6:7], null, s14, v104, 0
	v_mad_u64_u32 v[10:11], null, s12, v134, 0
	v_add_co_ci_u32_e32 v5, vcc_lo, 0, v77, vcc_lo
	v_add_co_u32 v8, vcc_lo, 0x1000, v76
	s_clause 0x1
	global_load_dwordx2 v[117:118], v[96:97], off offset:1864
	global_load_dwordx2 v[115:116], v[0:1], off offset:1272
	v_add_co_ci_u32_e32 v9, vcc_lo, 0, v77, vcc_lo
	v_mov_b32_e32 v0, v11
	v_mad_u64_u32 v[14:15], null, s15, v104, v[7:8]
	v_add_co_u32 v12, vcc_lo, 0x3000, v76
	v_mad_u64_u32 v[0:1], null, s13, v134, v[0:1]
	v_add_co_ci_u32_e32 v13, vcc_lo, 0, v77, vcc_lo
	v_mov_b32_e32 v7, v14
	s_clause 0x1
	global_load_dwordx2 v[111:112], v[2:3], off offset:864
	global_load_dwordx2 v[98:99], v[4:5], off offset:680
	s_mul_i32 s1, s13, 0x3e9
	s_mul_hi_u32 s7, s12, 0x3e9
	v_mov_b32_e32 v11, v0
	v_lshlrev_b64 v[0:1], 3, v[6:7]
	s_mul_i32 s0, s12, 0x3e9
	s_mul_hi_u32 s9, s12, 0xfffffccd
	s_add_i32 s1, s7, s1
	v_lshlrev_b64 v[2:3], 3, v[10:11]
	s_mul_i32 s8, s13, 0xfffffccd
	v_add_co_u32 v0, vcc_lo, s10, v0
	v_add_co_ci_u32_e32 v1, vcc_lo, s11, v1, vcc_lo
	s_mul_i32 s6, s12, 0xfffffccd
	v_add_co_u32 v0, vcc_lo, v0, v2
	v_add_co_ci_u32_e32 v1, vcc_lo, v1, v3, vcc_lo
	s_sub_i32 s7, s9, s12
	s_lshl_b64 s[12:13], s[0:1], 3
	s_add_i32 s7, s7, s8
	v_add_co_u32 v2, vcc_lo, v0, s12
	v_add_co_ci_u32_e32 v3, vcc_lo, s13, v1, vcc_lo
	s_lshl_b64 s[0:1], s[6:7], 3
	global_load_dwordx2 v[100:101], v[8:9], off offset:272
	v_add_co_u32 v4, vcc_lo, v2, s0
	v_add_co_ci_u32_e32 v5, vcc_lo, s1, v3, vcc_lo
	s_clause 0x1
	global_load_dwordx2 v[6:7], v[0:1], off
	global_load_dwordx2 v[10:11], v[2:3], off
	v_add_co_u32 v0, vcc_lo, v4, s12
	v_add_co_ci_u32_e32 v1, vcc_lo, s13, v5, vcc_lo
	global_load_dwordx2 v[102:103], v[12:13], off offset:88
	v_add_co_u32 v2, vcc_lo, v0, s0
	v_add_co_ci_u32_e32 v3, vcc_lo, s1, v1, vcc_lo
	s_clause 0x1
	global_load_dwordx2 v[4:5], v[4:5], off
	global_load_dwordx2 v[14:15], v[0:1], off
	v_add_co_u32 v0, vcc_lo, v2, s12
	v_add_co_ci_u32_e32 v1, vcc_lo, s13, v3, vcc_lo
	global_load_dwordx2 v[16:17], v[2:3], off
	v_add_co_u32 v2, vcc_lo, v0, s0
	v_add_co_ci_u32_e32 v3, vcc_lo, s1, v1, vcc_lo
	;; [unrolled: 3-line block ×5, first 2 shown]
	global_load_dwordx2 v[105:106], v[8:9], off offset:1728
	global_load_dwordx2 v[8:9], v[2:3], off
	global_load_dwordx2 v[107:108], v[12:13], off offset:1544
	global_load_dwordx2 v[12:13], v[0:1], off
	s_load_dwordx2 s[6:7], s[4:5], 0x38
	s_load_dwordx4 s[8:11], s[2:3], 0x0
	v_add_nc_u32_e32 v2, 0xa00, v133
	v_cmp_gt_u16_e32 vcc_lo, 0x5b, v28
	s_waitcnt vmcnt(12)
	v_mul_f32_e32 v26, v7, v114
	s_waitcnt vmcnt(11)
	v_mul_f32_e32 v24, v11, v118
	v_mul_f32_e32 v25, v10, v118
	v_mul_f32_e32 v27, v6, v114
	v_fmac_f32_e32 v26, v6, v113
	v_fmac_f32_e32 v24, v10, v117
	v_fma_f32 v25, v11, v117, -v25
	v_fma_f32 v27, v7, v113, -v27
	s_waitcnt vmcnt(9)
	v_mul_f32_e32 v3, v5, v110
	v_mul_f32_e32 v10, v4, v110
	ds_write_b64 v133, v[24:25] offset:8008
	s_waitcnt vmcnt(8)
	v_mul_f32_e32 v6, v14, v116
	v_fmac_f32_e32 v3, v4, v109
	v_fma_f32 v4, v5, v109, -v10
	v_mul_f32_e32 v5, v15, v116
	s_waitcnt vmcnt(7)
	v_mul_f32_e32 v10, v17, v112
	v_fma_f32 v6, v15, v115, -v6
	ds_write2_b64 v133, v[26:27], v[3:4] offset1:182
	v_mul_f32_e32 v4, v16, v112
	v_fmac_f32_e32 v5, v14, v115
	s_waitcnt vmcnt(6)
	v_mul_f32_e32 v3, v19, v99
	v_fmac_f32_e32 v10, v16, v111
	s_waitcnt vmcnt(5)
	v_mul_f32_e32 v7, v20, v101
	v_fma_f32 v11, v17, v111, -v4
	v_mul_f32_e32 v4, v18, v99
	v_mul_f32_e32 v14, v21, v101
	v_fmac_f32_e32 v3, v18, v98
	v_fma_f32 v15, v21, v100, -v7
	s_waitcnt vmcnt(4)
	v_mul_f32_e32 v16, v23, v103
	v_fma_f32 v4, v19, v98, -v4
	s_waitcnt vmcnt(2)
	v_mul_f32_e32 v7, v9, v106
	v_mul_f32_e32 v19, v8, v106
	v_fmac_f32_e32 v14, v20, v100
	v_mul_f32_e32 v17, v22, v103
	s_waitcnt vmcnt(0)
	v_mul_f32_e32 v18, v13, v108
	v_mul_f32_e32 v20, v12, v108
	v_fmac_f32_e32 v7, v8, v105
	v_fma_f32 v8, v9, v105, -v19
	v_fmac_f32_e32 v16, v22, v102
	v_fma_f32 v17, v23, v102, -v17
	;; [unrolled: 2-line block ×3, first 2 shown]
	v_add_nc_u32_e32 v9, 0x3000, v133
	ds_write2_b64 v29, v[5:6], v[3:4] offset0:31 offset1:213
	ds_write2_b64 v2, v[10:11], v[14:15] offset0:44 offset1:226
	ds_write_b64 v133, v[7:8] offset:5824
	ds_write2_b64 v9, v[16:17], v[18:19] offset0:11 offset1:193
	s_and_saveexec_b32 s2, vcc_lo
	s_cbranch_execz .LBB0_3
; %bb.2:
	v_add_co_u32 v0, s0, v0, s0
	v_add_co_ci_u32_e64 v1, s0, s1, v1, s0
	v_add_co_u32 v3, s0, 0x3800, v76
	v_add_co_ci_u32_e64 v4, s0, 0, v77, s0
	;; [unrolled: 2-line block ×3, first 2 shown]
	global_load_dwordx2 v[0:1], v[0:1], off
	s_clause 0x1
	global_load_dwordx2 v[7:8], v[96:97], off offset:1136
	global_load_dwordx2 v[3:4], v[3:4], off offset:952
	global_load_dwordx2 v[5:6], v[5:6], off
	s_waitcnt vmcnt(2)
	v_mul_f32_e32 v9, v1, v8
	v_mul_f32_e32 v8, v0, v8
	s_waitcnt vmcnt(0)
	v_mul_f32_e32 v11, v6, v4
	v_mul_f32_e32 v4, v5, v4
	v_fmac_f32_e32 v9, v0, v7
	v_fma_f32 v10, v1, v7, -v8
	v_fmac_f32_e32 v11, v5, v3
	v_fma_f32 v12, v6, v3, -v4
	ds_write_b64 v133, v[9:10] offset:7280
	ds_write_b64 v133, v[11:12] offset:15288
.LBB0_3:
	s_or_b32 exec_lo, exec_lo, s2
	v_add_nc_u32_e32 v0, 0x1e00, v133
	v_add_nc_u32_e32 v8, 0x2a00, v133
	s_waitcnt lgkmcnt(0)
	s_barrier
	buffer_gl0_inv
	ds_read2_b64 v[4:7], v133 offset1:182
	ds_read2_b64 v[12:15], v0 offset0:41 offset1:223
	ds_read2_b64 v[0:3], v2 offset0:44 offset1:226
	;; [unrolled: 1-line block ×3, first 2 shown]
	ds_read_b64 v[16:17], v133 offset:5824
	ds_read_b64 v[20:21], v133 offset:13832
                                        ; implicit-def: $vgpr22
                                        ; implicit-def: $vgpr18
	s_and_saveexec_b32 s0, vcc_lo
	s_cbranch_execz .LBB0_5
; %bb.4:
	ds_read_b64 v[18:19], v133 offset:7280
	ds_read_b64 v[22:23], v133 offset:15288
.LBB0_5:
	s_or_b32 exec_lo, exec_lo, s0
	s_load_dwordx2 s[2:3], s[4:5], 0x8
	s_waitcnt lgkmcnt(0)
	v_sub_f32_e32 v34, v0, v8
	v_sub_f32_e32 v35, v1, v9
	v_add_co_u32 v78, null, 0xb6, v134
	v_sub_f32_e32 v26, v4, v12
	v_sub_f32_e32 v27, v5, v13
	;; [unrolled: 1-line block ×3, first 2 shown]
	v_add_co_u32 v12, null, 0x38e, v134
	v_sub_f32_e32 v31, v7, v15
	v_sub_f32_e32 v38, v2, v10
	;; [unrolled: 1-line block ×3, first 2 shown]
	v_fma_f32 v32, v0, 2.0, -v34
	v_fma_f32 v33, v1, 2.0, -v35
	v_sub_f32_e32 v46, v16, v20
	v_sub_f32_e32 v47, v17, v21
	;; [unrolled: 1-line block ×4, first 2 shown]
	v_lshlrev_b16 v0, 1, v134
	v_mov_b32_e32 v1, 3
	v_lshlrev_b32_e32 v85, 4, v134
	v_fma_f32 v24, v4, 2.0, -v26
	v_fma_f32 v25, v5, 2.0, -v27
	;; [unrolled: 1-line block ×10, first 2 shown]
	v_lshlrev_b32_sdwa v137, v1, v0 dst_sel:DWORD dst_unused:UNUSED_PAD src0_sel:DWORD src1_sel:WORD_0
	v_lshlrev_b32_e32 v139, 4, v78
	v_lshlrev_b32_e32 v138, 4, v12
	s_barrier
	buffer_gl0_inv
	ds_write_b128 v137, v[24:27]
	ds_write_b128 v139, v[28:31]
	ds_write_b128 v85, v[32:35] offset:5824
	ds_write_b128 v85, v[36:39] offset:8736
	;; [unrolled: 1-line block ×3, first 2 shown]
	s_and_saveexec_b32 s0, vcc_lo
	s_cbranch_execz .LBB0_7
; %bb.6:
	ds_write_b128 v138, v[40:43]
.LBB0_7:
	s_or_b32 exec_lo, exec_lo, s0
	v_cmp_gt_u16_e64 s0, 0x9a, v134
	s_waitcnt lgkmcnt(0)
	s_barrier
	buffer_gl0_inv
                                        ; implicit-def: $vgpr48
	s_and_saveexec_b32 s1, s0
	s_cbranch_execz .LBB0_9
; %bb.8:
	v_add_nc_u32_e32 v0, 0x800, v133
	v_add_nc_u32_e32 v1, 0x1200, v133
	v_add_nc_u32_e32 v2, 0x1c00, v133
	v_add_nc_u32_e32 v3, 0x2400, v133
	v_add_nc_u32_e32 v4, 0x3000, v133
	ds_read2_b64 v[24:27], v133 offset1:154
	ds_read2_b64 v[28:31], v0 offset0:52 offset1:206
	ds_read2_b64 v[32:35], v1 offset0:40 offset1:194
	;; [unrolled: 1-line block ×5, first 2 shown]
	ds_read_b64 v[48:49], v133 offset:14784
.LBB0_9:
	s_or_b32 exec_lo, exec_lo, s1
	v_and_b32_e32 v135, 1, v134
	v_mul_u32_u24_e32 v0, 12, v135
	v_lshlrev_b32_e32 v0, 3, v0
	s_clause 0x5
	global_load_dwordx4 v[20:23], v0, s[2:3]
	global_load_dwordx4 v[16:19], v0, s[2:3] offset:16
	global_load_dwordx4 v[8:11], v0, s[2:3] offset:32
	;; [unrolled: 1-line block ×5, first 2 shown]
	s_waitcnt vmcnt(0) lgkmcnt(0)
	s_barrier
	buffer_gl0_inv
	v_mul_f32_e32 v50, v27, v21
	v_mul_f32_e32 v71, v26, v21
	;; [unrolled: 1-line block ×9, first 2 shown]
	v_fma_f32 v75, v26, v20, -v50
	v_fmac_f32_e32 v71, v27, v20
	v_fma_f32 v26, v48, v2, -v80
	v_fmac_f32_e32 v61, v49, v2
	v_mul_f32_e32 v69, v30, v17
	v_mul_f32_e32 v64, v44, v7
	;; [unrolled: 1-line block ×4, first 2 shown]
	v_fma_f32 v74, v28, v22, -v51
	v_fmac_f32_e32 v70, v29, v22
	v_fma_f32 v27, v42, v0, -v79
	v_fmac_f32_e32 v60, v43, v0
	v_sub_f32_e32 v48, v75, v26
	v_sub_f32_e32 v49, v71, v61
	v_mul_f32_e32 v53, v33, v19
	v_mul_f32_e32 v68, v32, v19
	;; [unrolled: 1-line block ×5, first 2 shown]
	v_fma_f32 v73, v30, v16, -v52
	v_fmac_f32_e32 v69, v31, v16
	v_fmac_f32_e32 v64, v45, v6
	v_fma_f32 v28, v40, v14, -v59
	v_fmac_f32_e32 v63, v41, v14
	v_add_f32_e32 v81, v75, v26
	v_add_f32_e32 v82, v71, v61
	v_sub_f32_e32 v50, v74, v27
	v_sub_f32_e32 v51, v70, v60
	v_mul_f32_e32 v42, 0xbeedf032, v49
	v_mul_f32_e32 v45, 0xbeedf032, v48
	v_mul_f32_e32 v83, 0xbf52af12, v49
	v_mul_f32_e32 v93, 0xbf52af12, v48
	v_mul_f32_e32 v124, 0xbf7e222b, v49
	v_mul_f32_e32 v131, 0xbf7e222b, v48
	v_mul_f32_e32 v149, 0xbf6f5d39, v49
	v_mul_f32_e32 v155, 0xbf6f5d39, v48
	v_mul_f32_e32 v161, 0xbf29c268, v49
	v_mul_f32_e32 v167, 0xbf29c268, v48
	v_mul_f32_e32 v172, 0xbe750f2a, v49
	v_mul_f32_e32 v179, 0xbe750f2a, v48
	v_mul_f32_e32 v54, v35, v9
	v_mul_f32_e32 v67, v34, v9
	v_mul_f32_e32 v55, v37, v11
	v_mul_f32_e32 v56, v39, v5
	v_fma_f32 v72, v32, v18, -v53
	v_fmac_f32_e32 v68, v33, v18
	v_fma_f32 v30, v44, v6, -v57
	v_fma_f32 v29, v46, v12, -v58
	v_fmac_f32_e32 v62, v47, v12
	v_add_f32_e32 v89, v74, v27
	v_add_f32_e32 v90, v70, v60
	v_sub_f32_e32 v52, v73, v28
	v_sub_f32_e32 v53, v69, v63
	v_mul_f32_e32 v40, 0xbf52af12, v51
	v_mul_f32_e32 v44, 0xbf52af12, v50
	;; [unrolled: 1-line block ×12, first 2 shown]
	v_fmamk_f32 v48, v81, 0x3f62ad3f, v42
	v_fma_f32 v49, 0x3f62ad3f, v82, -v45
	v_fmamk_f32 v136, v81, 0x3f116cb1, v83
	v_fma_f32 v181, 0x3f116cb1, v82, -v93
	v_fmamk_f32 v191, v81, 0x3df6dbef, v124
	v_fma_f32 v193, 0x3df6dbef, v82, -v131
	v_fmamk_f32 v203, v81, 0xbeb58ec6, v149
	v_fma_f32 v205, 0xbeb58ec6, v82, -v155
	v_fmamk_f32 v215, v81, 0xbf3f9e67, v161
	v_fma_f32 v217, 0xbf3f9e67, v82, -v167
	v_fmamk_f32 v227, v81, 0xbf788fa5, v172
	v_fma_f32 v229, 0xbf788fa5, v82, -v179
	v_mul_f32_e32 v66, v36, v11
	v_mul_f32_e32 v65, v38, v5
	v_fma_f32 v33, v34, v8, -v54
	v_fmac_f32_e32 v67, v35, v8
	v_fma_f32 v32, v36, v10, -v55
	v_fma_f32 v31, v38, v4, -v56
	v_add_f32_e32 v94, v73, v28
	v_add_f32_e32 v95, v69, v63
	v_sub_f32_e32 v54, v68, v62
	v_sub_f32_e32 v55, v72, v29
	v_mul_f32_e32 v38, 0xbf7e222b, v53
	v_mul_f32_e32 v43, 0xbf7e222b, v52
	;; [unrolled: 1-line block ×12, first 2 shown]
	v_fmamk_f32 v50, v89, 0x3f116cb1, v40
	v_fma_f32 v51, 0x3f116cb1, v90, -v44
	v_fmamk_f32 v180, v89, 0xbeb58ec6, v80
	v_fma_f32 v182, 0xbeb58ec6, v90, -v91
	;; [unrolled: 2-line block ×6, first 2 shown]
	v_add_f32_e32 v48, v24, v48
	v_add_f32_e32 v49, v25, v49
	v_add_f32_e32 v136, v24, v136
	v_add_f32_e32 v181, v25, v181
	v_add_f32_e32 v191, v24, v191
	v_add_f32_e32 v193, v25, v193
	v_add_f32_e32 v203, v24, v203
	v_add_f32_e32 v205, v25, v205
	v_add_f32_e32 v215, v24, v215
	v_add_f32_e32 v217, v25, v217
	v_add_f32_e32 v227, v24, v227
	v_add_f32_e32 v229, v25, v229
	v_fmac_f32_e32 v66, v37, v10
	v_fmac_f32_e32 v65, v39, v4
	v_add_f32_e32 v129, v72, v29
	v_add_f32_e32 v132, v68, v62
	v_sub_f32_e32 v56, v67, v64
	v_sub_f32_e32 v57, v33, v30
	v_mul_f32_e32 v37, 0xbf6f5d39, v54
	v_mul_f32_e32 v41, 0xbf6f5d39, v55
	;; [unrolled: 1-line block ×12, first 2 shown]
	v_fmamk_f32 v52, v94, 0x3df6dbef, v38
	v_fma_f32 v53, 0x3df6dbef, v95, -v43
	v_fmamk_f32 v183, v94, 0xbf788fa5, v84
	v_fma_f32 v184, 0xbf788fa5, v95, -v92
	;; [unrolled: 2-line block ×6, first 2 shown]
	v_add_f32_e32 v48, v50, v48
	v_add_f32_e32 v49, v51, v49
	v_add_f32_e32 v50, v180, v136
	v_add_f32_e32 v51, v182, v181
	v_add_f32_e32 v136, v192, v191
	v_add_f32_e32 v180, v194, v193
	v_add_f32_e32 v181, v204, v203
	v_add_f32_e32 v182, v206, v205
	v_add_f32_e32 v191, v216, v215
	v_add_f32_e32 v192, v218, v217
	v_add_f32_e32 v193, v228, v227
	v_add_f32_e32 v194, v230, v229
	v_add_f32_e32 v142, v33, v30
	v_add_f32_e32 v145, v67, v64
	v_sub_f32_e32 v58, v66, v65
	v_sub_f32_e32 v59, v32, v31
	v_mul_f32_e32 v35, 0xbf29c268, v56
	v_mul_f32_e32 v39, 0xbf29c268, v57
	;; [unrolled: 1-line block ×12, first 2 shown]
	v_fmamk_f32 v54, v129, 0xbeb58ec6, v37
	v_fma_f32 v55, 0xbeb58ec6, v132, -v41
	v_fmamk_f32 v185, v129, 0xbf3f9e67, v47
	v_fma_f32 v186, 0xbf3f9e67, v132, -v86
	;; [unrolled: 2-line block ×6, first 2 shown]
	v_add_f32_e32 v48, v52, v48
	v_add_f32_e32 v49, v53, v49
	v_add_f32_e32 v50, v183, v50
	v_add_f32_e32 v51, v184, v51
	v_add_f32_e32 v52, v195, v136
	v_add_f32_e32 v53, v196, v180
	v_add_f32_e32 v136, v207, v181
	v_add_f32_e32 v180, v208, v182
	v_add_f32_e32 v181, v219, v191
	v_add_f32_e32 v182, v220, v192
	v_add_f32_e32 v183, v231, v193
	v_add_f32_e32 v184, v232, v194
	v_add_f32_e32 v143, v32, v31
	v_add_f32_e32 v141, v66, v65
	v_mul_f32_e32 v34, 0xbe750f2a, v58
	v_mul_f32_e32 v36, 0xbe750f2a, v59
	;; [unrolled: 1-line block ×12, first 2 shown]
	v_fmamk_f32 v56, v142, 0xbf3f9e67, v35
	v_fma_f32 v57, 0xbf3f9e67, v145, -v39
	v_fmamk_f32 v187, v142, 0x3df6dbef, v79
	v_fma_f32 v188, 0x3df6dbef, v145, -v87
	;; [unrolled: 2-line block ×6, first 2 shown]
	v_add_f32_e32 v48, v54, v48
	v_add_f32_e32 v49, v55, v49
	;; [unrolled: 1-line block ×12, first 2 shown]
	v_fmamk_f32 v58, v143, 0xbf788fa5, v34
	v_fma_f32 v59, 0xbf788fa5, v141, -v36
	v_fmamk_f32 v189, v143, 0x3f62ad3f, v46
	v_fma_f32 v190, 0x3f62ad3f, v141, -v88
	;; [unrolled: 2-line block ×6, first 2 shown]
	v_add_f32_e32 v48, v56, v48
	v_add_f32_e32 v49, v57, v49
	;; [unrolled: 1-line block ×24, first 2 shown]
	v_lshrrev_b32_e32 v136, 1, v134
	s_and_saveexec_b32 s1, s0
	s_cbranch_execz .LBB0_11
; %bb.10:
	v_mul_f32_e32 v181, 0x3f62ad3f, v82
	v_mul_f32_e32 v183, 0x3f116cb1, v82
	;; [unrolled: 1-line block ×12, first 2 shown]
	v_add_f32_e32 v82, v179, v82
	v_mul_f32_e32 v180, 0x3f62ad3f, v81
	v_mul_f32_e32 v182, 0x3f116cb1, v81
	;; [unrolled: 1-line block ×12, first 2 shown]
	v_add_f32_e32 v82, v25, v82
	v_add_f32_e32 v90, v178, v90
	v_mul_f32_e32 v190, 0x3f116cb1, v89
	v_mul_f32_e32 v192, 0xbeb58ec6, v89
	;; [unrolled: 1-line block ×12, first 2 shown]
	v_sub_f32_e32 v81, v81, v172
	v_add_f32_e32 v82, v90, v82
	v_add_f32_e32 v90, v175, v95
	v_mul_f32_e32 v200, 0x3df6dbef, v94
	v_mul_f32_e32 v202, 0xbf788fa5, v94
	;; [unrolled: 1-line block ×12, first 2 shown]
	v_add_f32_e32 v81, v24, v81
	v_sub_f32_e32 v89, v89, v171
	v_add_f32_e32 v82, v90, v82
	v_add_f32_e32 v90, v176, v132
	v_mul_f32_e32 v210, 0xbeb58ec6, v129
	v_mul_f32_e32 v212, 0xbf3f9e67, v129
	;; [unrolled: 1-line block ×6, first 2 shown]
	v_add_f32_e32 v81, v89, v81
	v_sub_f32_e32 v89, v94, v173
	v_add_f32_e32 v82, v90, v82
	v_add_f32_e32 v90, v177, v145
	;; [unrolled: 1-line block ×3, first 2 shown]
	v_mul_f32_e32 v220, 0xbf3f9e67, v142
	v_mul_f32_e32 v222, 0x3df6dbef, v142
	;; [unrolled: 1-line block ×12, first 2 shown]
	v_add_f32_e32 v81, v89, v81
	v_sub_f32_e32 v89, v129, v169
	v_add_f32_e32 v82, v90, v82
	v_add_f32_e32 v90, v25, v94
	;; [unrolled: 1-line block ×5, first 2 shown]
	v_sub_f32_e32 v141, v142, v170
	v_sub_f32_e32 v142, v188, v161
	v_add_f32_e32 v90, v94, v90
	v_add_f32_e32 v94, v164, v209
	v_mul_f32_e32 v179, 0xbf788fa5, v143
	v_mul_f32_e32 v231, 0x3f62ad3f, v143
	;; [unrolled: 1-line block ×6, first 2 shown]
	v_add_f32_e32 v81, v129, v82
	v_add_f32_e32 v129, v141, v89
	;; [unrolled: 1-line block ×3, first 2 shown]
	v_sub_f32_e32 v89, v198, v160
	v_add_f32_e32 v90, v94, v90
	v_add_f32_e32 v94, v165, v219
	;; [unrolled: 1-line block ×3, first 2 shown]
	v_sub_f32_e32 v141, v143, v168
	v_add_f32_e32 v82, v89, v82
	v_sub_f32_e32 v89, v208, v157
	v_add_f32_e32 v90, v94, v90
	v_add_f32_e32 v94, v162, v229
	v_add_f32_e32 v142, v25, v142
	v_add_f32_e32 v143, v153, v197
	v_add_f32_e32 v82, v89, v82
	v_sub_f32_e32 v89, v218, v158
	v_add_f32_e32 v90, v94, v90
	v_add_f32_e32 v94, v163, v132
	;; [unrolled: 1-line block ×5, first 2 shown]
	v_sub_f32_e32 v89, v228, v159
	v_add_f32_e32 v90, v94, v90
	v_sub_f32_e32 v94, v186, v149
	v_add_f32_e32 v132, v142, v132
	v_add_f32_e32 v142, v151, v217
	;; [unrolled: 1-line block ×3, first 2 shown]
	v_sub_f32_e32 v89, v172, v156
	v_add_f32_e32 v94, v24, v94
	v_sub_f32_e32 v143, v196, v148
	v_add_f32_e32 v132, v142, v132
	v_add_f32_e32 v142, v152, v227
	;; [unrolled: 1-line block ×5, first 2 shown]
	v_sub_f32_e32 v131, v206, v146
	v_add_f32_e32 v132, v142, v132
	v_add_f32_e32 v95, v150, v95
	;; [unrolled: 1-line block ×5, first 2 shown]
	v_sub_f32_e32 v123, v194, v123
	v_add_f32_e32 v94, v95, v132
	v_sub_f32_e32 v95, v184, v124
	v_add_f32_e32 v70, v71, v70
	v_add_f32_e32 v71, v75, v74
	;; [unrolled: 1-line block ×3, first 2 shown]
	v_sub_f32_e32 v120, v204, v120
	v_add_f32_e32 v95, v24, v95
	v_add_f32_e32 v45, v45, v181
	;; [unrolled: 1-line block ×11, first 2 shown]
	v_sub_f32_e32 v120, v214, v121
	v_add_f32_e32 v68, v69, v68
	v_add_f32_e32 v69, v70, v72
	;; [unrolled: 1-line block ×5, first 2 shown]
	v_sub_f32_e32 v95, v224, v122
	v_sub_f32_e32 v83, v182, v83
	;; [unrolled: 1-line block ×3, first 2 shown]
	v_add_f32_e32 v25, v44, v25
	v_add_f32_e32 v44, v68, v67
	;; [unrolled: 1-line block ×8, first 2 shown]
	v_sub_f32_e32 v40, v190, v40
	v_add_f32_e32 v42, v44, v66
	v_add_f32_e32 v32, v33, v32
	;; [unrolled: 1-line block ×8, first 2 shown]
	v_sub_f32_e32 v80, v192, v80
	v_sub_f32_e32 v38, v200, v38
	v_add_f32_e32 v25, v33, v25
	v_add_f32_e32 v32, v39, v221
	;; [unrolled: 1-line block ×7, first 2 shown]
	v_sub_f32_e32 v84, v202, v84
	v_add_f32_e32 v24, v38, v24
	v_sub_f32_e32 v31, v210, v37
	v_add_f32_e32 v25, v32, v25
	v_add_f32_e32 v32, v33, v62
	v_add_f32_e32 v29, v30, v29
	v_add_f32_e32 v82, v124, v82
	v_add_f32_e32 v124, v128, v215
	v_add_f32_e32 v86, v86, v213
	v_add_f32_e32 v80, v84, v80
	v_sub_f32_e32 v84, v212, v47
	v_sub_f32_e32 v142, v216, v147
	v_add_f32_e32 v24, v31, v24
	v_sub_f32_e32 v30, v220, v35
	v_add_f32_e32 v32, v32, v63
	v_add_f32_e32 v28, v29, v28
	v_mul_u32_u24_e32 v29, 26, v136
	v_add_f32_e32 v82, v124, v82
	v_add_f32_e32 v123, v126, v225
	;; [unrolled: 1-line block ×5, first 2 shown]
	v_sub_f32_e32 v75, v222, v79
	v_add_f32_e32 v127, v142, v131
	v_sub_f32_e32 v130, v226, v144
	v_add_f32_e32 v31, v36, v230
	v_add_f32_e32 v24, v30, v24
	v_sub_f32_e32 v30, v179, v34
	v_add_f32_e32 v32, v32, v60
	v_add_f32_e32 v28, v28, v27
	v_or_b32_e32 v29, v29, v135
	v_add_f32_e32 v82, v123, v82
	v_add_f32_e32 v120, v125, v233
	v_sub_f32_e32 v93, v178, v119
	v_add_f32_e32 v86, v87, v86
	v_add_f32_e32 v87, v88, v232
	;; [unrolled: 1-line block ×3, first 2 shown]
	v_sub_f32_e32 v37, v231, v46
	v_add_f32_e32 v127, v130, v127
	v_sub_f32_e32 v121, v234, v140
	v_add_f32_e32 v25, v31, v25
	v_add_f32_e32 v24, v30, v24
	;; [unrolled: 1-line block ×4, first 2 shown]
	v_lshlrev_b32_e32 v28, 3, v29
	v_add_f32_e32 v83, v120, v82
	v_add_f32_e32 v82, v93, v92
	;; [unrolled: 1-line block ×6, first 2 shown]
	ds_write2_b64 v28, v[26:27], v[24:25] offset1:2
	ds_write2_b64 v28, v[46:47], v[82:83] offset0:4 offset1:6
	ds_write2_b64 v28, v[93:94], v[89:90] offset0:8 offset1:10
	;; [unrolled: 1-line block ×5, first 2 shown]
	ds_write_b64 v28, v[50:51] offset:192
.LBB0_11:
	s_or_b32 exec_lo, exec_lo, s1
	s_waitcnt lgkmcnt(0)
	s_barrier
	buffer_gl0_inv
	ds_read_b64 v[60:61], v133
	ds_read_b64 v[72:73], v133 offset:2288
	ds_read_b64 v[70:71], v133 offset:4576
	;; [unrolled: 1-line block ×6, first 2 shown]
	v_cmp_gt_u16_e64 s1, 0x68, v134
                                        ; implicit-def: $vgpr74
	s_and_saveexec_b32 s4, s1
	s_cbranch_execz .LBB0_13
; %bb.12:
	ds_read_b64 v[48:49], v133 offset:1456
	ds_read_b64 v[58:59], v133 offset:3744
	ds_read_b64 v[56:57], v133 offset:6032
	ds_read_b64 v[54:55], v133 offset:8320
	ds_read_b64 v[52:53], v133 offset:10608
	ds_read_b64 v[50:51], v133 offset:12896
	ds_read_b64 v[74:75], v133 offset:15184
.LBB0_13:
	s_or_b32 exec_lo, exec_lo, s4
	v_and_b32_e32 v24, 0xff, v134
	v_mov_b32_e32 v25, 0x4ec5
	v_mov_b32_e32 v82, 0xb6
	v_mul_lo_u16 v24, 0x4f, v24
	v_lshrrev_b16 v79, 11, v24
	v_mul_u32_u24_sdwa v24, v78, v25 dst_sel:DWORD dst_unused:UNUSED_PAD src0_sel:WORD_0 src1_sel:DWORD
	v_mul_lo_u16 v25, v79, 26
	v_lshrrev_b32_e32 v80, 19, v24
	v_mul_u32_u24_sdwa v79, v79, v82 dst_sel:DWORD dst_unused:UNUSED_PAD src0_sel:WORD_0 src1_sel:DWORD
	v_sub_nc_u16 v24, v134, v25
	v_mul_lo_u16 v25, v80, 26
	v_and_b32_e32 v81, 0xff, v24
	v_sub_nc_u16 v78, v78, v25
	v_mad_u64_u32 v[24:25], null, v81, 48, s[2:3]
	v_mul_lo_u16 v26, v78, 48
	v_mad_u16 v140, 0xb6, v80, v78
	v_add_lshl_u32 v141, v79, v81, 3
	s_clause 0x1
	global_load_dwordx4 v[44:47], v[24:25], off offset:192
	global_load_dwordx4 v[36:39], v[24:25], off offset:208
	v_and_b32_e32 v26, 0xffff, v26
	v_add_co_u32 v32, s4, s2, v26
	v_add_co_ci_u32_e64 v33, null, s3, 0, s4
	s_clause 0x3
	global_load_dwordx4 v[40:43], v[24:25], off offset:224
	global_load_dwordx4 v[28:31], v[32:33], off offset:192
	;; [unrolled: 1-line block ×4, first 2 shown]
	s_waitcnt vmcnt(0) lgkmcnt(0)
	s_barrier
	buffer_gl0_inv
	v_mul_f32_e32 v78, v73, v45
	v_mul_f32_e32 v79, v72, v45
	;; [unrolled: 1-line block ×8, first 2 shown]
	v_fma_f32 v72, v72, v44, -v78
	v_fmac_f32_e32 v79, v73, v44
	v_mul_f32_e32 v87, v65, v41
	v_mul_f32_e32 v88, v64, v41
	v_mul_f32_e32 v89, v63, v43
	v_mul_f32_e32 v90, v62, v43
	v_mul_f32_e32 v91, v59, v29
	v_mul_f32_e32 v92, v58, v29
	v_mul_f32_e32 v93, v57, v31
	v_mul_f32_e32 v94, v56, v31
	v_mul_f32_e32 v122, v51, v33
	v_mul_f32_e32 v123, v50, v33
	v_mul_f32_e32 v124, v75, v35
	v_mul_f32_e32 v125, v74, v35
	v_mul_f32_e32 v95, v55, v25
	v_mul_f32_e32 v119, v54, v25
	v_mul_f32_e32 v120, v53, v27
	v_mul_f32_e32 v121, v52, v27
	v_fma_f32 v70, v70, v46, -v80
	v_fmac_f32_e32 v81, v71, v46
	v_fma_f32 v64, v64, v40, -v87
	v_fmac_f32_e32 v88, v65, v40
	;; [unrolled: 2-line block ×11, first 2 shown]
	v_add_f32_e32 v53, v72, v62
	v_add_f32_e32 v55, v79, v90
	v_sub_f32_e32 v57, v72, v62
	v_add_f32_e32 v62, v70, v64
	v_add_f32_e32 v63, v81, v88
	v_sub_f32_e32 v64, v70, v64
	v_add_f32_e32 v70, v58, v51
	v_add_f32_e32 v71, v92, v125
	;; [unrolled: 1-line block ×4, first 2 shown]
	v_sub_f32_e32 v59, v79, v90
	v_sub_f32_e32 v65, v81, v88
	v_add_f32_e32 v67, v68, v66
	v_add_f32_e32 v69, v83, v86
	v_sub_f32_e32 v66, v66, v68
	v_sub_f32_e32 v68, v86, v83
	;; [unrolled: 1-line block ×6, first 2 shown]
	v_add_f32_e32 v74, v54, v52
	v_add_f32_e32 v75, v119, v121
	v_sub_f32_e32 v52, v52, v54
	v_sub_f32_e32 v54, v121, v119
	v_add_f32_e32 v78, v62, v53
	v_add_f32_e32 v79, v63, v55
	;; [unrolled: 1-line block ×4, first 2 shown]
	v_sub_f32_e32 v80, v62, v53
	v_sub_f32_e32 v81, v63, v55
	v_sub_f32_e32 v53, v53, v67
	v_sub_f32_e32 v55, v55, v69
	v_sub_f32_e32 v82, v67, v62
	v_sub_f32_e32 v83, v69, v63
	v_add_f32_e32 v62, v66, v64
	v_add_f32_e32 v63, v68, v65
	v_sub_f32_e32 v84, v66, v64
	v_sub_f32_e32 v86, v68, v65
	;; [unrolled: 1-line block ×10, first 2 shown]
	v_add_f32_e32 v91, v52, v50
	v_add_f32_e32 v92, v54, v56
	v_sub_f32_e32 v93, v52, v50
	v_sub_f32_e32 v94, v54, v56
	;; [unrolled: 1-line block ×5, first 2 shown]
	v_add_f32_e32 v67, v67, v78
	v_add_f32_e32 v69, v69, v79
	;; [unrolled: 1-line block ×4, first 2 shown]
	v_sub_f32_e32 v66, v57, v66
	v_sub_f32_e32 v68, v59, v68
	;; [unrolled: 1-line block ×3, first 2 shown]
	v_add_f32_e32 v57, v62, v57
	v_add_f32_e32 v59, v63, v59
	v_mul_f32_e32 v50, 0x3f4a47b2, v53
	v_mul_f32_e32 v53, 0x3f4a47b2, v55
	;; [unrolled: 1-line block ×8, first 2 shown]
	v_add_f32_e32 v87, v91, v51
	v_add_f32_e32 v58, v92, v58
	v_mul_f32_e32 v51, 0x3f4a47b2, v70
	v_mul_f32_e32 v70, 0x3f4a47b2, v71
	;; [unrolled: 1-line block ×8, first 2 shown]
	v_add_f32_e32 v62, v60, v67
	v_add_f32_e32 v63, v61, v69
	v_add_f32_e32 v48, v48, v74
	v_add_f32_e32 v49, v49, v75
	v_fmamk_f32 v60, v82, 0x3d64c772, v50
	v_fmamk_f32 v61, v83, 0x3d64c772, v53
	v_fma_f32 v82, 0x3f3bfb3b, v80, -v55
	v_fma_f32 v78, 0x3f3bfb3b, v81, -v78
	v_fma_f32 v80, 0xbf3bfb3b, v80, -v50
	v_fma_f32 v81, 0xbf3bfb3b, v81, -v53
	v_fmamk_f32 v83, v66, 0x3eae86e6, v79
	v_fmamk_f32 v120, v68, 0x3eae86e6, v84
	v_fma_f32 v79, 0x3f5ff5aa, v64, -v79
	v_fma_f32 v84, 0x3f5ff5aa, v65, -v84
	v_fma_f32 v86, 0xbeae86e6, v66, -v86
	v_fma_f32 v119, 0xbeae86e6, v68, -v119
	;; [unrolled: 6-line block ×4, first 2 shown]
	v_fmamk_f32 v56, v67, 0xbf955555, v62
	v_fmamk_f32 v67, v69, 0xbf955555, v63
	;; [unrolled: 1-line block ×4, first 2 shown]
	v_fmac_f32_e32 v83, 0x3ee1c552, v57
	v_fmac_f32_e32 v120, 0x3ee1c552, v59
	;; [unrolled: 1-line block ×12, first 2 shown]
	v_add_f32_e32 v74, v60, v56
	v_add_f32_e32 v75, v61, v67
	;; [unrolled: 1-line block ×13, first 2 shown]
	v_sub_f32_e32 v65, v75, v83
	v_add_f32_e32 v125, v53, v59
	v_sub_f32_e32 v126, v61, v55
	v_sub_f32_e32 v123, v58, v52
	v_add_f32_e32 v124, v54, v60
	v_sub_f32_e32 v121, v56, v51
	v_add_f32_e32 v122, v50, v57
	v_add_f32_e32 v66, v119, v80
	v_sub_f32_e32 v67, v81, v86
	v_sub_f32_e32 v68, v73, v84
	v_add_f32_e32 v69, v79, v78
	v_add_f32_e32 v70, v84, v73
	v_sub_f32_e32 v71, v78, v79
	v_sub_f32_e32 v72, v80, v119
	v_add_f32_e32 v73, v86, v81
	v_sub_f32_e32 v74, v74, v120
	v_add_f32_e32 v75, v83, v75
	ds_write2_b64 v141, v[62:63], v[64:65] offset1:26
	ds_write2_b64 v141, v[66:67], v[68:69] offset0:52 offset1:78
	ds_write2_b64 v141, v[70:71], v[72:73] offset0:104 offset1:130
	ds_write_b64 v141, v[74:75] offset:1248
	s_and_saveexec_b32 s4, s1
	s_cbranch_execz .LBB0_15
; %bb.14:
	v_mov_b32_e32 v63, 3
	v_add_f32_e32 v62, v55, v61
	v_sub_f32_e32 v61, v59, v53
	v_sub_f32_e32 v53, v60, v54
	;; [unrolled: 1-line block ×3, first 2 shown]
	v_add_f32_e32 v54, v51, v56
	v_lshlrev_b32_sdwa v50, v63, v140 dst_sel:DWORD dst_unused:UNUSED_PAD src0_sel:DWORD src1_sel:WORD_0
	v_add_f32_e32 v52, v52, v58
	ds_write2_b64 v50, v[48:49], v[54:55] offset1:26
	ds_write2_b64 v50, v[52:53], v[61:62] offset0:52 offset1:78
	ds_write2_b64 v50, v[125:126], v[123:124] offset0:104 offset1:130
	ds_write_b64 v50, v[121:122] offset:1248
.LBB0_15:
	s_or_b32 exec_lo, exec_lo, s4
	v_mad_u64_u32 v[56:57], null, 0x50, v134, s[2:3]
	s_waitcnt lgkmcnt(0)
	s_barrier
	buffer_gl0_inv
	v_add_nc_u32_e32 v74, 0xa00, v133
	v_add_nc_u32_e32 v75, 0x1600, v133
	;; [unrolled: 1-line block ×3, first 2 shown]
	s_clause 0x4
	global_load_dwordx4 v[64:67], v[56:57], off offset:1440
	global_load_dwordx4 v[60:63], v[56:57], off offset:1456
	;; [unrolled: 1-line block ×5, first 2 shown]
	ds_read2_b64 v[68:71], v133 offset1:182
	v_add_nc_u32_e32 v79, 0x2c00, v133
	ds_read2_b64 v[80:83], v74 offset0:44 offset1:226
	ds_read2_b64 v[86:89], v75 offset0:24 offset1:206
	ds_read_b64 v[94:95], v133 offset:14560
	ds_read2_b64 v[90:93], v78 offset0:68 offset1:250
	ds_read2_b64 v[127:130], v79 offset0:48 offset1:230
	v_add_co_u32 v72, s2, 0x3e90, v76
	v_add_co_ci_u32_e64 v73, s2, 0, v77, s2
	v_add_co_u32 v119, s2, 0x3800, v76
	v_add_co_ci_u32_e64 v120, s2, 0, v77, s2
	s_waitcnt vmcnt(4) lgkmcnt(5)
	v_mul_f32_e32 v84, v71, v65
	v_mul_f32_e32 v131, v70, v65
	s_waitcnt lgkmcnt(4)
	v_mul_f32_e32 v132, v81, v67
	v_mul_f32_e32 v142, v80, v67
	s_waitcnt vmcnt(3)
	v_mul_f32_e32 v143, v83, v61
	s_waitcnt lgkmcnt(3)
	v_mul_f32_e32 v146, v86, v63
	s_waitcnt vmcnt(2)
	v_mul_f32_e32 v147, v89, v53
	v_mul_f32_e32 v148, v88, v53
	s_waitcnt vmcnt(1) lgkmcnt(1)
	v_mul_f32_e32 v152, v92, v49
	s_waitcnt vmcnt(0) lgkmcnt(0)
	v_mul_f32_e32 v155, v130, v57
	v_mul_f32_e32 v157, v95, v59
	;; [unrolled: 1-line block ×3, first 2 shown]
	v_fma_f32 v70, v70, v64, -v84
	v_fmac_f32_e32 v131, v71, v64
	v_mul_f32_e32 v144, v82, v61
	v_mul_f32_e32 v145, v87, v63
	;; [unrolled: 1-line block ×8, first 2 shown]
	v_fma_f32 v71, v80, v66, -v132
	v_fmac_f32_e32 v142, v81, v66
	v_fma_f32 v80, v82, v60, -v143
	v_fmac_f32_e32 v146, v87, v62
	;; [unrolled: 2-line block ×3, first 2 shown]
	v_fmac_f32_e32 v152, v93, v48
	v_fma_f32 v87, v129, v56, -v155
	v_fma_f32 v93, v94, v58, -v157
	v_fmac_f32_e32 v158, v95, v58
	v_add_f32_e32 v88, v68, v70
	v_add_f32_e32 v89, v69, v131
	v_fmac_f32_e32 v144, v83, v60
	v_fma_f32 v81, v86, v62, -v145
	v_fma_f32 v83, v90, v54, -v149
	v_fmac_f32_e32 v150, v91, v54
	v_fma_f32 v84, v92, v48, -v151
	v_fma_f32 v86, v127, v50, -v153
	v_fmac_f32_e32 v154, v128, v50
	v_fmac_f32_e32 v156, v130, v56
	v_add_f32_e32 v90, v70, v93
	v_sub_f32_e32 v70, v70, v93
	v_sub_f32_e32 v92, v131, v158
	v_add_f32_e32 v94, v71, v87
	v_sub_f32_e32 v127, v71, v87
	v_add_f32_e32 v71, v88, v71
	v_add_f32_e32 v88, v89, v142
	;; [unrolled: 1-line block ×4, first 2 shown]
	v_sub_f32_e32 v128, v142, v156
	v_add_f32_e32 v129, v80, v86
	v_sub_f32_e32 v131, v80, v86
	v_sub_f32_e32 v132, v144, v154
	;; [unrolled: 1-line block ×6, first 2 shown]
	v_mul_f32_e32 v89, 0xbf0a6770, v92
	v_mul_f32_e32 v142, 0xbf0a6770, v70
	;; [unrolled: 1-line block ×10, first 2 shown]
	v_add_f32_e32 v71, v71, v80
	v_add_f32_e32 v80, v88, v144
	v_add_f32_e32 v130, v144, v154
	v_add_f32_e32 v143, v81, v84
	v_add_f32_e32 v145, v146, v152
	v_add_f32_e32 v151, v82, v83
	v_add_f32_e32 v153, v148, v150
	v_mul_f32_e32 v165, 0xbf68dda4, v128
	v_mul_f32_e32 v166, 0xbf68dda4, v127
	;; [unrolled: 1-line block ×40, first 2 shown]
	v_fma_f32 v88, 0x3f575c64, v90, -v89
	v_fmamk_f32 v144, v91, 0x3f575c64, v142
	v_fmac_f32_e32 v89, 0x3f575c64, v90
	v_fma_f32 v142, 0x3f575c64, v91, -v142
	v_fma_f32 v197, 0x3ed4b147, v90, -v159
	v_fmamk_f32 v198, v91, 0x3ed4b147, v160
	v_fmac_f32_e32 v159, 0x3ed4b147, v90
	v_fma_f32 v160, 0x3ed4b147, v91, -v160
	;; [unrolled: 4-line block ×5, first 2 shown]
	v_add_f32_e32 v71, v71, v81
	v_add_f32_e32 v80, v80, v146
	v_fma_f32 v90, 0x3ed4b147, v94, -v165
	v_fmamk_f32 v91, v95, 0x3ed4b147, v166
	v_fmac_f32_e32 v165, 0x3ed4b147, v94
	v_fma_f32 v166, 0x3ed4b147, v95, -v166
	v_fma_f32 v205, 0xbf27a4f4, v94, -v167
	v_fmamk_f32 v206, v95, 0xbf27a4f4, v168
	v_fmac_f32_e32 v167, 0xbf27a4f4, v94
	v_fma_f32 v168, 0xbf27a4f4, v95, -v168
	;; [unrolled: 4-line block ×20, first 2 shown]
	v_add_f32_e32 v81, v68, v88
	v_add_f32_e32 v88, v69, v144
	;; [unrolled: 1-line block ×112, first 2 shown]
	ds_write2_b64 v133, v[94:95], v[68:69] offset1:182
	ds_write2_b64 v74, v[70:71], v[82:83] offset0:44 offset1:226
	ds_write2_b64 v75, v[88:89], v[92:93] offset0:24 offset1:206
	;; [unrolled: 1-line block ×4, first 2 shown]
	ds_write_b64 v133, v[127:128] offset:14560
	s_waitcnt lgkmcnt(0)
	s_barrier
	buffer_gl0_inv
	global_load_dwordx2 v[78:79], v[119:120], off offset:1680
	v_add_co_u32 v68, s2, 0x6000, v76
	v_add_co_ci_u32_e64 v69, s2, 0, v77, s2
	v_add_co_u32 v70, s2, 0x4800, v76
	v_add_co_ci_u32_e64 v71, s2, 0, v77, s2
	;; [unrolled: 2-line block ×4, first 2 shown]
	s_clause 0x3
	global_load_dwordx2 v[90:91], v[68:69], off offset:904
	global_load_dwordx2 v[92:93], v[70:71], off offset:496
	;; [unrolled: 1-line block ×4, first 2 shown]
	v_add_co_u32 v68, s2, 0x5800, v76
	v_add_co_ci_u32_e64 v69, s2, 0, v77, s2
	s_clause 0x1
	global_load_dwordx2 v[83:84], v[82:83], off offset:1176
	global_load_dwordx2 v[131:132], v[68:69], off offset:1496
	v_add_co_u32 v68, s2, 0x6800, v76
	v_add_co_ci_u32_e64 v69, s2, 0, v77, s2
	s_clause 0x2
	global_load_dwordx2 v[142:143], v[68:69], off offset:312
	global_load_dwordx2 v[144:145], v[68:69], off offset:1768
	;; [unrolled: 1-line block ×3, first 2 shown]
	ds_read2_b64 v[68:71], v133 offset1:182
	ds_read_b64 v[148:149], v133 offset:5824
	ds_read_b64 v[150:151], v133 offset:13832
	v_add_nc_u32_e32 v154, 0x400, v133
	v_add_nc_u32_e32 v155, 0x1000, v133
	s_waitcnt vmcnt(9) lgkmcnt(2)
	v_mul_f32_e32 v75, v69, v79
	v_mul_f32_e32 v76, v68, v79
	v_fma_f32 v75, v68, v78, -v75
	v_fmac_f32_e32 v76, v69, v78
	v_add_nc_u32_e32 v69, 0x1e00, v133
	v_add_nc_u32_e32 v68, 0x2a00, v133
	ds_write_b64 v133, v[75:76]
	ds_read2_b64 v[75:78], v69 offset0:41 offset1:223
	ds_read2_b64 v[79:82], v74 offset0:44 offset1:226
	;; [unrolled: 1-line block ×3, first 2 shown]
	s_waitcnt vmcnt(6)
	v_mul_f32_e32 v152, v71, v95
	v_mul_f32_e32 v153, v70, v95
	s_waitcnt vmcnt(5) lgkmcnt(5)
	v_mul_f32_e32 v95, v148, v130
	v_mul_f32_e32 v156, v149, v130
	v_fma_f32 v152, v70, v94, -v152
	v_fmac_f32_e32 v153, v71, v94
	s_waitcnt vmcnt(4) lgkmcnt(4)
	v_mul_f32_e32 v157, v151, v84
	v_mul_f32_e32 v130, v150, v84
	v_fmac_f32_e32 v95, v149, v129
	v_fma_f32 v94, v148, v129, -v156
	v_fma_f32 v129, v150, v83, -v157
	v_fmac_f32_e32 v130, v151, v83
	s_waitcnt vmcnt(3) lgkmcnt(2)
	v_mul_f32_e32 v70, v76, v132
	v_mul_f32_e32 v71, v75, v132
	;; [unrolled: 1-line block ×4, first 2 shown]
	s_waitcnt lgkmcnt(1)
	v_mul_f32_e32 v149, v80, v93
	v_mul_f32_e32 v91, v79, v93
	s_waitcnt vmcnt(2) lgkmcnt(0)
	v_mul_f32_e32 v150, v87, v143
	v_mul_f32_e32 v93, v86, v143
	s_waitcnt vmcnt(0)
	v_mul_f32_e32 v156, v82, v147
	v_mul_f32_e32 v143, v81, v147
	;; [unrolled: 1-line block ×4, first 2 shown]
	v_fma_f32 v70, v75, v131, -v70
	v_fmac_f32_e32 v71, v76, v131
	v_fma_f32 v131, v77, v90, -v84
	v_fmac_f32_e32 v132, v78, v90
	;; [unrolled: 2-line block ×6, first 2 shown]
	ds_write2_b64 v69, v[70:71], v[131:132] offset0:41 offset1:223
	ds_write2_b64 v154, v[152:153], v[90:91] offset0:54 offset1:236
	;; [unrolled: 1-line block ×4, first 2 shown]
	ds_write_b64 v133, v[129:130] offset:13832
	s_and_saveexec_b32 s3, vcc_lo
	s_cbranch_execz .LBB0_17
; %bb.16:
	v_add_co_u32 v70, s2, 0x1800, v72
	v_add_co_ci_u32_e64 v71, s2, 0, v73, s2
	v_add_co_u32 v72, s2, 0x3800, v72
	v_add_co_ci_u32_e64 v73, s2, 0, v73, s2
	s_clause 0x1
	global_load_dwordx2 v[70:71], v[70:71], off offset:1136
	global_load_dwordx2 v[72:73], v[72:73], off offset:952
	ds_read_b64 v[75:76], v133 offset:7280
	ds_read_b64 v[77:78], v133 offset:15288
	s_waitcnt vmcnt(1) lgkmcnt(1)
	v_mul_f32_e32 v79, v76, v71
	v_mul_f32_e32 v80, v75, v71
	s_waitcnt vmcnt(0) lgkmcnt(0)
	v_mul_f32_e32 v81, v78, v73
	v_mul_f32_e32 v71, v77, v73
	v_fma_f32 v79, v75, v70, -v79
	v_fmac_f32_e32 v80, v76, v70
	v_fma_f32 v70, v77, v72, -v81
	v_fmac_f32_e32 v71, v78, v72
	ds_write_b64 v133, v[79:80] offset:7280
	ds_write_b64 v133, v[70:71] offset:15288
.LBB0_17:
	s_or_b32 exec_lo, exec_lo, s3
	s_waitcnt lgkmcnt(0)
	s_barrier
	buffer_gl0_inv
	ds_read2_b64 v[77:80], v133 offset1:182
	ds_read2_b64 v[81:84], v69 offset0:41 offset1:223
	ds_read2_b64 v[73:76], v74 offset0:44 offset1:226
	ds_read2_b64 v[92:95], v68 offset0:21 offset1:203
	ds_read_b64 v[129:130], v133 offset:5824
	ds_read_b64 v[131:132], v133 offset:13832
	v_add_nc_u32_e32 v144, 0x16c0, v85
	v_add_nc_u32_e32 v143, 0x2220, v85
	;; [unrolled: 1-line block ×3, first 2 shown]
	s_and_saveexec_b32 s2, vcc_lo
	s_cbranch_execz .LBB0_19
; %bb.18:
	ds_read_b64 v[127:128], v133 offset:7280
	ds_read_b64 v[125:126], v133 offset:15288
.LBB0_19:
	s_or_b32 exec_lo, exec_lo, s2
	s_waitcnt lgkmcnt(4)
	v_sub_f32_e32 v71, v78, v82
	v_sub_f32_e32 v90, v79, v83
	;; [unrolled: 1-line block ×3, first 2 shown]
	s_waitcnt lgkmcnt(2)
	v_sub_f32_e32 v87, v74, v93
	v_sub_f32_e32 v82, v75, v94
	;; [unrolled: 1-line block ×3, first 2 shown]
	v_fma_f32 v69, v78, 2.0, -v71
	v_sub_f32_e32 v86, v73, v92
	v_fma_f32 v88, v79, 2.0, -v90
	v_fma_f32 v89, v80, 2.0, -v91
	;; [unrolled: 1-line block ×3, first 2 shown]
	v_sub_f32_e32 v83, v76, v95
	v_fma_f32 v80, v75, 2.0, -v82
	s_waitcnt lgkmcnt(0)
	v_sub_f32_e32 v78, v129, v131
	v_sub_f32_e32 v79, v130, v132
	;; [unrolled: 1-line block ×4, first 2 shown]
	v_fma_f32 v68, v77, 2.0, -v70
	v_fma_f32 v84, v73, 2.0, -v86
	;; [unrolled: 1-line block ×7, first 2 shown]
	s_barrier
	buffer_gl0_inv
	ds_write_b128 v137, v[68:71]
	ds_write_b128 v139, v[88:91]
	;; [unrolled: 1-line block ×5, first 2 shown]
	s_and_saveexec_b32 s2, vcc_lo
	s_cbranch_execz .LBB0_21
; %bb.20:
	ds_write_b128 v138, v[72:75]
.LBB0_21:
	s_or_b32 exec_lo, exec_lo, s2
	s_waitcnt lgkmcnt(0)
	s_barrier
	buffer_gl0_inv
	s_and_saveexec_b32 s2, s0
	s_cbranch_execz .LBB0_23
; %bb.22:
	v_add_nc_u32_e32 v72, 0x800, v133
	v_add_nc_u32_e32 v73, 0x1200, v133
	;; [unrolled: 1-line block ×5, first 2 shown]
	ds_read2_b64 v[68:71], v133 offset1:154
	ds_read2_b64 v[88:91], v72 offset0:52 offset1:206
	ds_read2_b64 v[84:87], v73 offset0:40 offset1:194
	;; [unrolled: 1-line block ×5, first 2 shown]
	ds_read_b64 v[123:124], v133 offset:14784
.LBB0_23:
	s_or_b32 exec_lo, exec_lo, s2
	s_waitcnt lgkmcnt(6)
	v_mul_f32_e32 v92, v21, v71
	v_mul_f32_e32 v93, v21, v70
	s_waitcnt lgkmcnt(5)
	v_mul_f32_e32 v21, v23, v89
	v_mul_f32_e32 v23, v23, v88
	s_waitcnt lgkmcnt(0)
	v_fmac_f32_e32 v92, v20, v70
	v_fma_f32 v93, v20, v71, -v93
	v_mul_f32_e32 v20, v17, v91
	v_mul_f32_e32 v70, v17, v90
	;; [unrolled: 1-line block ×3, first 2 shown]
	v_fmac_f32_e32 v21, v22, v88
	v_fma_f32 v71, v22, v89, -v23
	v_mul_f32_e32 v22, v19, v84
	v_mul_f32_e32 v19, v11, v81
	v_fmac_f32_e32 v17, v18, v84
	v_mul_f32_e32 v11, v11, v80
	v_mul_f32_e32 v23, v13, v79
	v_fma_f32 v85, v18, v85, -v22
	v_mul_f32_e32 v18, v5, v83
	v_mul_f32_e32 v5, v5, v82
	v_fmac_f32_e32 v19, v10, v80
	v_fma_f32 v80, v10, v81, -v11
	v_mul_f32_e32 v22, v7, v77
	v_mul_f32_e32 v7, v7, v76
	v_fmac_f32_e32 v18, v4, v82
	v_fma_f32 v81, v4, v83, -v5
	v_mul_f32_e32 v4, v3, v123
	v_mul_f32_e32 v5, v13, v78
	v_fmac_f32_e32 v22, v6, v76
	v_fma_f32 v76, v6, v77, -v7
	v_fmac_f32_e32 v23, v12, v78
	v_mul_f32_e32 v77, v15, v73
	v_mul_f32_e32 v13, v3, v124
	;; [unrolled: 1-line block ×3, first 2 shown]
	v_fma_f32 v15, v2, v124, -v4
	v_fma_f32 v78, v12, v79, -v5
	v_mul_f32_e32 v12, v1, v75
	v_mul_f32_e32 v1, v1, v74
	v_fmac_f32_e32 v77, v14, v72
	v_fmac_f32_e32 v13, v2, v123
	v_fma_f32 v14, v14, v73, -v3
	v_sub_f32_e32 v2, v93, v15
	v_add_f32_e32 v3, v15, v93
	v_fma_f32 v72, v0, v75, -v1
	v_fmac_f32_e32 v20, v16, v90
	v_fma_f32 v70, v16, v91, -v70
	v_mul_f32_e32 v16, v9, v87
	v_add_f32_e32 v155, v13, v92
	v_sub_f32_e32 v156, v92, v13
	v_mul_f32_e32 v73, 0xbeedf032, v2
	v_mul_f32_e32 v79, 0x3f62ad3f, v3
	v_fmac_f32_e32 v12, v0, v74
	v_mul_f32_e32 v83, 0x3f116cb1, v3
	v_mul_f32_e32 v90, 0x3df6dbef, v3
	;; [unrolled: 1-line block ×5, first 2 shown]
	v_sub_f32_e32 v3, v71, v72
	v_mul_f32_e32 v9, v9, v86
	v_fmac_f32_e32 v16, v8, v86
	v_fma_f32 v4, 0x3f62ad3f, v155, -v73
	v_fmamk_f32 v75, v156, 0xbe750f2a, v152
	v_add_f32_e32 v166, v12, v21
	v_mul_f32_e32 v74, 0xbf52af12, v3
	v_add_f32_e32 v86, v72, v71
	v_fma_f32 v84, v8, v87, -v9
	v_mul_f32_e32 v82, 0xbf52af12, v2
	v_fmamk_f32 v5, v156, 0xbeedf032, v79
	v_add_f32_e32 v0, v68, v4
	v_add_f32_e32 v94, v69, v75
	v_fma_f32 v87, 0x3f116cb1, v166, -v74
	v_sub_f32_e32 v168, v21, v12
	v_mul_f32_e32 v75, 0x3f116cb1, v86
	v_fma_f32 v6, 0x3f116cb1, v155, -v82
	v_add_f32_e32 v1, v69, v5
	v_mul_f32_e32 v95, 0xbf6f5d39, v2
	v_fmamk_f32 v7, v156, 0xbf7e222b, v90
	v_mul_f32_e32 v130, 0xbf29c268, v2
	v_mul_f32_e32 v89, 0xbf6f5d39, v3
	v_add_f32_e32 v0, v87, v0
	v_fmamk_f32 v87, v168, 0xbf52af12, v75
	v_mul_f32_e32 v127, 0xbf788fa5, v86
	v_add_f32_e32 v5, v68, v6
	v_fma_f32 v8, 0xbeb58ec6, v155, -v95
	v_fmamk_f32 v9, v156, 0xbf6f5d39, v126
	v_add_f32_e32 v7, v69, v7
	v_fma_f32 v10, 0xbf3f9e67, v155, -v130
	v_mul_f32_e32 v146, 0xbe750f2a, v2
	v_fma_f32 v123, 0xbeb58ec6, v166, -v89
	v_add_f32_e32 v1, v87, v1
	v_fmamk_f32 v87, v168, 0xbe750f2a, v127
	v_mul_f32_e32 v132, 0x3f29c268, v3
	v_mul_f32_e32 v143, 0xbf3f9e67, v86
	v_fmamk_f32 v4, v156, 0xbf52af12, v83
	v_mul_f32_e32 v88, 0xbf7e222b, v2
	v_add_f32_e32 v8, v68, v8
	v_add_f32_e32 v9, v69, v9
	;; [unrolled: 1-line block ×3, first 2 shown]
	v_fmamk_f32 v10, v156, 0xbf29c268, v139
	v_fma_f32 v11, 0xbf788fa5, v155, -v146
	v_mul_f32_e32 v91, 0xbeb58ec6, v86
	v_add_f32_e32 v5, v123, v5
	v_add_f32_e32 v7, v87, v7
	v_mul_f32_e32 v153, 0x3df6dbef, v86
	v_fma_f32 v87, 0xbf3f9e67, v166, -v132
	v_fmamk_f32 v123, v168, 0x3f29c268, v143
	v_mul_f32_e32 v161, 0x3eedf032, v3
	v_add_f32_e32 v4, v69, v4
	v_fma_f32 v6, 0x3df6dbef, v155, -v88
	v_add_f32_e32 v10, v69, v10
	v_add_f32_e32 v11, v68, v11
	v_mul_f32_e32 v124, 0xbe750f2a, v3
	v_fmamk_f32 v125, v168, 0xbf6f5d39, v91
	v_mul_f32_e32 v149, 0x3f7e222b, v3
	v_fmamk_f32 v3, v168, 0x3f7e222b, v153
	v_add_f32_e32 v8, v87, v8
	v_add_f32_e32 v9, v123, v9
	v_fma_f32 v87, 0x3f62ad3f, v166, -v161
	v_add_f32_e32 v123, v14, v70
	v_add_f32_e32 v6, v68, v6
	v_fma_f32 v128, 0xbf788fa5, v166, -v124
	v_add_f32_e32 v4, v125, v4
	v_fma_f32 v125, 0x3df6dbef, v166, -v149
	v_add_f32_e32 v3, v3, v10
	v_mul_f32_e32 v165, 0x3f62ad3f, v86
	v_sub_f32_e32 v10, v70, v14
	v_add_f32_e32 v11, v87, v11
	v_sub_f32_e32 v177, v20, v77
	v_mul_f32_e32 v87, 0x3df6dbef, v123
	v_add_f32_e32 v6, v128, v6
	v_add_f32_e32 v2, v125, v2
	;; [unrolled: 1-line block ×3, first 2 shown]
	v_mul_f32_e32 v86, 0xbf7e222b, v10
	v_fmamk_f32 v128, v168, 0x3eedf032, v165
	v_mul_f32_e32 v125, 0xbe750f2a, v10
	v_fmamk_f32 v137, v177, 0xbf7e222b, v87
	v_mul_f32_e32 v164, 0x3f116cb1, v123
	v_mul_f32_e32 v129, 0xbf788fa5, v123
	v_fma_f32 v131, 0x3df6dbef, v176, -v86
	v_add_f32_e32 v128, v128, v94
	v_fma_f32 v94, 0xbf788fa5, v176, -v125
	v_add_f32_e32 v1, v137, v1
	v_mul_f32_e32 v137, 0x3f6f5d39, v10
	v_mul_f32_e32 v142, 0xbeb58ec6, v123
	;; [unrolled: 1-line block ×5, first 2 shown]
	v_fmamk_f32 v10, v177, 0xbf52af12, v164
	v_fmamk_f32 v138, v177, 0xbe750f2a, v129
	v_add_f32_e32 v0, v131, v0
	v_add_f32_e32 v5, v94, v5
	v_fma_f32 v94, 0xbeb58ec6, v176, -v137
	v_mul_f32_e32 v158, 0x3f62ad3f, v123
	v_fmamk_f32 v131, v177, 0x3f6f5d39, v142
	v_add_f32_e32 v3, v10, v3
	v_add_f32_e32 v10, v78, v85
	;; [unrolled: 1-line block ×3, first 2 shown]
	v_fma_f32 v138, 0x3f62ad3f, v176, -v148
	v_add_f32_e32 v6, v94, v6
	v_fmamk_f32 v94, v177, 0x3eedf032, v158
	v_add_f32_e32 v7, v131, v7
	v_sub_f32_e32 v131, v85, v78
	v_mul_f32_e32 v179, 0xbf3f9e67, v123
	v_fma_f32 v123, 0xbf3f9e67, v176, -v174
	v_sub_f32_e32 v187, v17, v23
	v_mul_f32_e32 v145, 0xbf3f9e67, v10
	v_fma_f32 v144, 0x3f116cb1, v176, -v160
	v_add_f32_e32 v8, v138, v8
	v_add_f32_e32 v9, v94, v9
	;; [unrolled: 1-line block ×3, first 2 shown]
	v_mul_f32_e32 v94, 0xbf6f5d39, v131
	v_fmamk_f32 v138, v177, 0xbf29c268, v179
	v_add_f32_e32 v11, v123, v11
	v_mul_f32_e32 v123, 0xbeb58ec6, v10
	v_fmamk_f32 v150, v187, 0x3f29c268, v145
	v_mul_f32_e32 v182, 0x3f52af12, v131
	v_add_f32_e32 v2, v144, v2
	v_fma_f32 v144, 0xbeb58ec6, v185, -v94
	v_add_f32_e32 v147, v138, v128
	v_mul_f32_e32 v128, 0x3f29c268, v131
	v_fmamk_f32 v138, v187, 0xbf6f5d39, v123
	v_mul_f32_e32 v151, 0x3eedf032, v131
	v_add_f32_e32 v4, v150, v4
	v_fma_f32 v150, 0x3f116cb1, v185, -v182
	v_add_f32_e32 v0, v144, v0
	v_mul_f32_e32 v157, 0x3f62ad3f, v10
	v_fma_f32 v144, 0xbf3f9e67, v185, -v128
	v_add_f32_e32 v1, v138, v1
	v_fma_f32 v138, 0x3f62ad3f, v185, -v151
	v_mul_f32_e32 v162, 0xbf7e222b, v131
	v_mul_f32_e32 v169, 0x3df6dbef, v10
	;; [unrolled: 1-line block ×5, first 2 shown]
	v_add_f32_e32 v10, v150, v11
	v_add_f32_e32 v150, v76, v84
	v_fmamk_f32 v154, v187, 0x3eedf032, v157
	v_add_f32_e32 v5, v144, v5
	v_add_f32_e32 v6, v138, v6
	v_fma_f32 v138, 0x3df6dbef, v185, -v162
	v_fmamk_f32 v131, v187, 0xbf7e222b, v169
	v_fma_f32 v144, 0xbf788fa5, v185, -v172
	v_sub_f32_e32 v11, v84, v76
	v_sub_f32_e32 v192, v16, v22
	v_mul_f32_e32 v159, 0x3df6dbef, v150
	v_add_f32_e32 v7, v154, v7
	v_add_f32_e32 v8, v138, v8
	v_fmamk_f32 v138, v187, 0x3e750f2a, v175
	v_add_f32_e32 v9, v131, v9
	v_add_f32_e32 v2, v144, v2
	v_fmamk_f32 v154, v187, 0x3f52af12, v186
	v_add_f32_e32 v191, v22, v16
	v_mul_f32_e32 v131, 0xbf29c268, v11
	v_mul_f32_e32 v144, 0x3f7e222b, v11
	v_fmamk_f32 v171, v192, 0x3f7e222b, v159
	v_add_f32_e32 v3, v138, v3
	v_mul_f32_e32 v138, 0xbf3f9e67, v150
	v_add_f32_e32 v154, v154, v147
	v_fma_f32 v147, 0xbf3f9e67, v191, -v131
	v_fma_f32 v170, 0x3df6dbef, v191, -v144
	v_add_f32_e32 v188, v171, v4
	v_mul_f32_e32 v171, 0x3e750f2a, v11
	v_mul_f32_e32 v180, 0xbf788fa5, v150
	;; [unrolled: 1-line block ×3, first 2 shown]
	v_fmamk_f32 v167, v192, 0xbf29c268, v138
	v_mul_f32_e32 v163, 0xbf52af12, v11
	v_add_f32_e32 v0, v147, v0
	v_add_f32_e32 v5, v170, v5
	v_fma_f32 v147, 0xbf788fa5, v191, -v171
	v_fmamk_f32 v170, v192, 0x3e750f2a, v180
	v_fma_f32 v173, 0x3f62ad3f, v191, -v183
	v_mul_f32_e32 v184, 0x3f62ad3f, v150
	v_sub_f32_e32 v197, v80, v81
	v_mul_f32_e32 v190, 0xbf6f5d39, v11
	v_add_f32_e32 v11, v81, v80
	v_mul_f32_e32 v195, 0xbeb58ec6, v150
	v_add_f32_e32 v1, v167, v1
	v_fma_f32 v4, 0x3f116cb1, v191, -v163
	v_mul_f32_e32 v167, 0x3f116cb1, v150
	v_add_f32_e32 v8, v147, v8
	v_add_f32_e32 v9, v170, v9
	;; [unrolled: 1-line block ×3, first 2 shown]
	v_fmamk_f32 v2, v192, 0x3eedf032, v184
	v_add_f32_e32 v196, v18, v19
	v_mul_f32_e32 v147, 0xbe750f2a, v197
	v_sub_f32_e32 v194, v19, v18
	v_mul_f32_e32 v150, 0xbf788fa5, v11
	v_fmamk_f32 v170, v192, 0xbf6f5d39, v195
	v_add_f32_e32 v6, v4, v6
	v_fmamk_f32 v4, v192, 0xbf52af12, v167
	v_fma_f32 v173, 0xbf788fa5, v196, -v147
	v_add_f32_e32 v200, v2, v3
	v_fmamk_f32 v3, v194, 0xbe750f2a, v150
	v_add_f32_e32 v202, v170, v154
	v_mul_f32_e32 v154, 0x3eedf032, v197
	v_mul_f32_e32 v170, 0x3f62ad3f, v11
	;; [unrolled: 1-line block ×3, first 2 shown]
	v_add_f32_e32 v7, v4, v7
	v_fma_f32 v4, 0xbeb58ec6, v191, -v190
	v_add_f32_e32 v2, v173, v0
	v_add_f32_e32 v3, v3, v1
	v_fma_f32 v0, 0x3f62ad3f, v196, -v154
	v_mul_f32_e32 v181, 0x3f52af12, v197
	v_fmamk_f32 v1, v194, 0x3eedf032, v170
	v_fmamk_f32 v189, v194, 0xbf29c268, v178
	v_add_f32_e32 v201, v4, v10
	v_mul_f32_e32 v173, 0xbf29c268, v197
	v_add_f32_e32 v4, v0, v5
	v_fma_f32 v0, 0x3f116cb1, v196, -v181
	v_add_f32_e32 v5, v1, v188
	v_add_f32_e32 v7, v189, v7
	v_mul_f32_e32 v188, 0x3f116cb1, v11
	v_mul_f32_e32 v189, 0xbf6f5d39, v197
	;; [unrolled: 1-line block ×5, first 2 shown]
	v_fma_f32 v10, 0xbf3f9e67, v196, -v173
	v_add_f32_e32 v8, v0, v8
	v_fmamk_f32 v0, v194, 0x3f52af12, v188
	v_fma_f32 v1, 0xbeb58ec6, v196, -v189
	v_fmamk_f32 v11, v194, 0xbf6f5d39, v193
	v_fma_f32 v203, 0x3df6dbef, v196, -v197
	v_fmamk_f32 v204, v194, 0x3f7e222b, v198
	v_add_f32_e32 v6, v10, v6
	v_add_f32_e32 v9, v0, v9
	;; [unrolled: 1-line block ×6, first 2 shown]
	s_barrier
	buffer_gl0_inv
	s_and_saveexec_b32 s2, s0
	s_cbranch_execz .LBB0_25
; %bb.24:
	v_mul_f32_e32 v200, 0xbeedf032, v156
	v_mul_f32_e32 v202, 0xbf52af12, v156
	v_mul_f32_e32 v204, 0xbf7e222b, v156
	v_mul_f32_e32 v206, 0xbf6f5d39, v156
	v_mul_f32_e32 v208, 0xbf29c268, v156
	v_mul_f32_e32 v156, 0xbe750f2a, v156
	v_mul_f32_e32 v210, 0xbf52af12, v168
	v_mul_f32_e32 v212, 0xbf6f5d39, v168
	v_mul_f32_e32 v214, 0xbe750f2a, v168
	v_mul_f32_e32 v216, 0x3f29c268, v168
	v_mul_f32_e32 v218, 0x3f7e222b, v168
	v_mul_f32_e32 v168, 0x3eedf032, v168
	v_sub_f32_e32 v152, v152, v156
	v_mul_f32_e32 v199, 0x3f62ad3f, v155
	v_mul_f32_e32 v201, 0x3f116cb1, v155
	;; [unrolled: 1-line block ×12, first 2 shown]
	v_add_f32_e32 v152, v69, v152
	v_sub_f32_e32 v165, v165, v168
	v_mul_f32_e32 v209, 0x3f116cb1, v166
	v_mul_f32_e32 v211, 0xbeb58ec6, v166
	;; [unrolled: 1-line block ×12, first 2 shown]
	v_add_f32_e32 v146, v155, v146
	v_add_f32_e32 v152, v165, v152
	v_sub_f32_e32 v155, v179, v177
	v_mul_f32_e32 v219, 0x3df6dbef, v176
	v_mul_f32_e32 v221, 0xbf788fa5, v176
	;; [unrolled: 1-line block ×12, first 2 shown]
	v_add_f32_e32 v146, v68, v146
	v_add_f32_e32 v161, v166, v161
	;; [unrolled: 1-line block ×3, first 2 shown]
	v_sub_f32_e32 v155, v186, v187
	v_sub_f32_e32 v139, v139, v208
	v_add_f32_e32 v149, v217, v149
	v_add_f32_e32 v146, v161, v146
	;; [unrolled: 1-line block ×4, first 2 shown]
	v_sub_f32_e32 v155, v195, v192
	v_mul_f32_e32 v174, 0x3f7e222b, v194
	v_add_f32_e32 v139, v69, v139
	v_sub_f32_e32 v153, v153, v218
	v_mul_f32_e32 v237, 0xbf788fa5, v185
	v_add_f32_e32 v152, v155, v152
	v_sub_f32_e32 v155, v198, v174
	v_add_f32_e32 v174, v207, v130
	v_sub_f32_e32 v126, v126, v206
	v_add_f32_e32 v93, v93, v69
	v_add_f32_e32 v92, v68, v92
	;; [unrolled: 1-line block ×5, first 2 shown]
	v_sub_f32_e32 v153, v164, v228
	v_mul_f32_e32 v247, 0x3f62ad3f, v191
	v_add_f32_e32 v126, v69, v126
	v_add_f32_e32 v149, v149, v152
	;; [unrolled: 1-line block ×3, first 2 shown]
	v_sub_f32_e32 v143, v143, v216
	v_add_f32_e32 v71, v71, v93
	v_add_f32_e32 v21, v21, v92
	;; [unrolled: 1-line block ×5, first 2 shown]
	v_sub_f32_e32 v153, v175, v238
	v_add_f32_e32 v88, v203, v88
	v_mul_f32_e32 v177, 0xbeb58ec6, v196
	v_add_f32_e32 v126, v143, v126
	v_sub_f32_e32 v143, v158, v226
	v_add_f32_e32 v149, v152, v149
	v_add_f32_e32 v152, v247, v183
	;; [unrolled: 1-line block ×4, first 2 shown]
	v_mul_f32_e32 v166, 0xbf6f5d39, v194
	v_add_f32_e32 v139, v153, v139
	v_sub_f32_e32 v153, v184, v248
	v_add_f32_e32 v88, v68, v88
	v_add_f32_e32 v124, v213, v124
	;; [unrolled: 1-line block ×5, first 2 shown]
	v_sub_f32_e32 v90, v90, v204
	v_sub_f32_e32 v83, v83, v202
	;; [unrolled: 1-line block ×3, first 2 shown]
	v_add_f32_e32 v70, v85, v70
	v_add_f32_e32 v17, v17, v20
	v_mul_f32_e32 v233, 0x3f62ad3f, v185
	v_add_f32_e32 v139, v153, v139
	v_sub_f32_e32 v153, v193, v166
	v_add_f32_e32 v88, v124, v88
	v_add_f32_e32 v124, v223, v137
	;; [unrolled: 1-line block ×6, first 2 shown]
	v_sub_f32_e32 v91, v91, v212
	v_add_f32_e32 v82, v201, v82
	v_add_f32_e32 v21, v69, v79
	v_sub_f32_e32 v69, v75, v210
	v_add_f32_e32 v20, v199, v73
	v_add_f32_e32 v70, v84, v70
	;; [unrolled: 1-line block ×3, first 2 shown]
	v_mul_f32_e32 v243, 0x3f116cb1, v191
	v_add_f32_e32 v153, v153, v139
	v_sub_f32_e32 v139, v169, v236
	v_add_f32_e32 v88, v124, v88
	v_add_f32_e32 v124, v233, v151
	;; [unrolled: 1-line block ×4, first 2 shown]
	v_sub_f32_e32 v91, v129, v222
	v_add_f32_e32 v129, v68, v82
	v_add_f32_e32 v21, v69, v21
	v_sub_f32_e32 v69, v87, v220
	v_add_f32_e32 v17, v68, v20
	v_add_f32_e32 v20, v209, v74
	;; [unrolled: 1-line block ×4, first 2 shown]
	v_mul_f32_e32 v168, 0xbf3f9e67, v196
	v_mul_f32_e32 v165, 0x3f52af12, v194
	v_add_f32_e32 v126, v139, v126
	v_sub_f32_e32 v139, v180, v246
	v_add_f32_e32 v88, v124, v88
	v_add_f32_e32 v124, v243, v163
	v_add_f32_e32 v21, v69, v21
	v_sub_f32_e32 v19, v123, v230
	v_add_f32_e32 v17, v20, v17
	v_add_f32_e32 v20, v219, v86
	v_add_f32_e32 v68, v81, v68
	v_add_f32_e32 v16, v18, v16
	v_add_f32_e32 v126, v139, v126
	v_sub_f32_e32 v139, v188, v165
	v_sub_f32_e32 v127, v127, v214
	v_add_f32_e32 v83, v91, v83
	v_sub_f32_e32 v91, v145, v232
	v_add_f32_e32 v88, v124, v88
	v_add_f32_e32 v124, v168, v173
	;; [unrolled: 1-line block ×4, first 2 shown]
	v_mul_f32_e32 v229, 0xbeb58ec6, v185
	v_add_f32_e32 v18, v19, v21
	v_sub_f32_e32 v19, v138, v240
	v_add_f32_e32 v17, v20, v17
	v_add_f32_e32 v20, v76, v68
	;; [unrolled: 1-line block ×3, first 2 shown]
	v_mul_f32_e32 v231, 0xbf3f9e67, v185
	v_mul_f32_e32 v251, 0x3eedf032, v194
	v_add_f32_e32 v90, v139, v126
	v_add_f32_e32 v126, v127, v143
	v_sub_f32_e32 v127, v142, v224
	v_add_f32_e32 v91, v91, v83
	v_sub_f32_e32 v137, v159, v242
	v_add_f32_e32 v82, v124, v88
	v_add_f32_e32 v88, v89, v129
	;; [unrolled: 1-line block ×3, first 2 shown]
	v_mul_f32_e32 v235, 0x3df6dbef, v185
	v_add_f32_e32 v95, v132, v95
	v_add_f32_e32 v132, v225, v148
	v_mul_f32_e32 v185, 0x3f116cb1, v185
	v_mul_f32_e32 v239, 0xbf3f9e67, v191
	v_add_f32_e32 v21, v229, v94
	v_add_f32_e32 v18, v19, v18
	v_add_f32_e32 v19, v78, v20
	v_add_f32_e32 v16, v23, v16
	v_mul_f32_e32 v241, 0x3df6dbef, v191
	v_add_f32_e32 v126, v127, v126
	v_sub_f32_e32 v127, v157, v234
	v_add_f32_e32 v91, v137, v91
	v_sub_f32_e32 v124, v170, v251
	v_add_f32_e32 v89, v89, v88
	v_add_f32_e32 v125, v231, v128
	v_mul_f32_e32 v245, 0xbf788fa5, v191
	v_add_f32_e32 v95, v132, v95
	v_add_f32_e32 v132, v235, v162
	v_mul_f32_e32 v191, 0xbeb58ec6, v191
	;; [unrolled: 3-line block ×3, first 2 shown]
	v_mul_f32_e32 v249, 0xbe750f2a, v194
	v_add_f32_e32 v17, v21, v17
	v_add_f32_e32 v20, v239, v131
	;; [unrolled: 1-line block ×4, first 2 shown]
	v_mul_u32_u24_e32 v19, 26, v136
	v_mul_f32_e32 v250, 0x3f62ad3f, v196
	v_mul_f32_e32 v252, 0xbf29c268, v194
	v_add_f32_e32 v126, v127, v126
	v_sub_f32_e32 v127, v167, v244
	v_add_f32_e32 v88, v124, v91
	v_add_f32_e32 v89, v125, v89
	;; [unrolled: 1-line block ×3, first 2 shown]
	v_mul_f32_e32 v253, 0x3f116cb1, v196
	v_add_f32_e32 v95, v132, v95
	v_add_f32_e32 v132, v245, v171
	v_mul_f32_e32 v179, 0x3df6dbef, v196
	v_add_f32_e32 v146, v161, v146
	v_add_f32_e32 v161, v191, v190
	v_sub_f32_e32 v21, v150, v249
	v_add_f32_e32 v20, v20, v17
	v_add_f32_e32 v23, v156, v147
	;; [unrolled: 1-line block ×4, first 2 shown]
	v_or_b32_e32 v19, v19, v135
	v_add_f32_e32 v126, v127, v126
	v_sub_f32_e32 v127, v178, v252
	v_add_f32_e32 v71, v91, v89
	v_add_f32_e32 v22, v250, v154
	;; [unrolled: 1-line block ×10, first 2 shown]
	v_lshlrev_b32_e32 v12, 3, v19
	v_add_f32_e32 v83, v127, v126
	v_add_f32_e32 v87, v22, v71
	;; [unrolled: 1-line block ×4, first 2 shown]
	ds_write2_b64 v12, v[13:14], v[16:17] offset1:2
	ds_write2_b64 v12, v[87:88], v[82:83] offset0:4 offset1:6
	ds_write2_b64 v12, v[89:90], v[152:153] offset0:8 offset1:10
	;; [unrolled: 1-line block ×5, first 2 shown]
	ds_write_b64 v12, v[2:3] offset:192
.LBB0_25:
	s_or_b32 exec_lo, exec_lo, s2
	s_waitcnt lgkmcnt(0)
	s_barrier
	buffer_gl0_inv
	ds_read_b64 v[12:13], v133
	ds_read_b64 v[68:69], v133 offset:2288
	ds_read_b64 v[22:23], v133 offset:4576
	ds_read_b64 v[20:21], v133 offset:6864
	ds_read_b64 v[16:17], v133 offset:9152
	ds_read_b64 v[14:15], v133 offset:11440
	ds_read_b64 v[18:19], v133 offset:13728
	s_and_saveexec_b32 s0, s1
	s_cbranch_execz .LBB0_27
; %bb.26:
	ds_read_b64 v[0:1], v133 offset:1456
	ds_read_b64 v[10:11], v133 offset:3744
	;; [unrolled: 1-line block ×7, first 2 shown]
.LBB0_27:
	s_or_b32 exec_lo, exec_lo, s0
	s_waitcnt lgkmcnt(5)
	v_mul_f32_e32 v70, v45, v69
	v_mul_f32_e32 v45, v45, v68
	s_waitcnt lgkmcnt(4)
	v_mul_f32_e32 v71, v47, v23
	v_mul_f32_e32 v47, v47, v22
	s_waitcnt lgkmcnt(0)
	v_fmac_f32_e32 v70, v44, v68
	v_fma_f32 v44, v44, v69, -v45
	v_mul_f32_e32 v45, v37, v21
	v_mul_f32_e32 v37, v37, v20
	;; [unrolled: 1-line block ×3, first 2 shown]
	v_fmac_f32_e32 v71, v46, v22
	v_fma_f32 v22, v46, v23, -v47
	v_fmac_f32_e32 v45, v36, v20
	v_fma_f32 v20, v36, v21, -v37
	v_mul_f32_e32 v21, v43, v19
	v_mul_f32_e32 v23, v43, v18
	;; [unrolled: 1-line block ×4, first 2 shown]
	v_fmac_f32_e32 v68, v38, v16
	v_mul_f32_e32 v16, v39, v16
	v_fmac_f32_e32 v21, v42, v18
	v_fma_f32 v18, v42, v19, -v23
	v_fmac_f32_e32 v36, v40, v14
	v_fma_f32 v14, v40, v15, -v37
	v_fma_f32 v16, v38, v17, -v16
	v_add_f32_e32 v15, v70, v21
	v_add_f32_e32 v17, v44, v18
	v_sub_f32_e32 v19, v70, v21
	v_add_f32_e32 v21, v71, v36
	v_add_f32_e32 v23, v22, v14
	v_sub_f32_e32 v36, v71, v36
	v_sub_f32_e32 v14, v22, v14
	v_add_f32_e32 v22, v45, v68
	v_add_f32_e32 v37, v20, v16
	v_sub_f32_e32 v38, v68, v45
	;; [unrolled: 4-line block ×3, first 2 shown]
	v_sub_f32_e32 v40, v21, v15
	v_sub_f32_e32 v41, v23, v17
	;; [unrolled: 1-line block ×6, first 2 shown]
	v_add_f32_e32 v42, v38, v36
	v_add_f32_e32 v43, v16, v14
	v_sub_f32_e32 v44, v38, v36
	v_sub_f32_e32 v45, v16, v14
	v_add_f32_e32 v20, v22, v20
	v_add_f32_e32 v22, v37, v39
	v_sub_f32_e32 v36, v36, v19
	v_sub_f32_e32 v14, v14, v18
	;; [unrolled: 1-line block ×4, first 2 shown]
	v_add_f32_e32 v19, v42, v19
	v_add_f32_e32 v18, v43, v18
	;; [unrolled: 1-line block ×4, first 2 shown]
	v_mul_f32_e32 v15, 0x3f4a47b2, v15
	v_mul_f32_e32 v17, 0x3f4a47b2, v17
	;; [unrolled: 1-line block ×8, first 2 shown]
	v_fmamk_f32 v20, v20, 0xbf955555, v12
	v_fmamk_f32 v22, v22, 0xbf955555, v13
	;; [unrolled: 1-line block ×4, first 2 shown]
	v_fma_f32 v37, 0x3f3bfb3b, v40, -v37
	v_fma_f32 v39, 0x3f3bfb3b, v41, -v39
	;; [unrolled: 1-line block ×4, first 2 shown]
	v_fmamk_f32 v40, v38, 0xbeae86e6, v42
	v_fmamk_f32 v41, v16, 0xbeae86e6, v43
	v_fma_f32 v36, 0xbf5ff5aa, v36, -v42
	v_fma_f32 v42, 0xbf5ff5aa, v14, -v43
	;; [unrolled: 1-line block ×4, first 2 shown]
	v_add_f32_e32 v44, v21, v20
	v_add_f32_e32 v45, v23, v22
	v_fmac_f32_e32 v40, 0xbee1c552, v19
	v_fmac_f32_e32 v41, 0xbee1c552, v18
	v_add_f32_e32 v21, v37, v20
	v_add_f32_e32 v23, v39, v22
	;; [unrolled: 1-line block ×4, first 2 shown]
	v_fmac_f32_e32 v36, 0xbee1c552, v19
	v_fmac_f32_e32 v43, 0xbee1c552, v18
	;; [unrolled: 1-line block ×4, first 2 shown]
	v_add_f32_e32 v14, v41, v44
	v_sub_f32_e32 v15, v45, v40
	v_add_f32_e32 v16, v43, v37
	v_sub_f32_e32 v17, v39, v38
	v_sub_f32_e32 v18, v21, v42
	v_add_f32_e32 v19, v36, v23
	v_add_f32_e32 v20, v42, v21
	v_sub_f32_e32 v21, v23, v36
	v_sub_f32_e32 v22, v37, v43
	v_add_f32_e32 v23, v38, v39
	v_sub_f32_e32 v36, v44, v41
	v_add_f32_e32 v37, v40, v45
	s_barrier
	buffer_gl0_inv
	ds_write2_b64 v141, v[12:13], v[14:15] offset1:26
	ds_write2_b64 v141, v[16:17], v[18:19] offset0:52 offset1:78
	ds_write2_b64 v141, v[20:21], v[22:23] offset0:104 offset1:130
	ds_write_b64 v141, v[36:37] offset:1248
	s_and_saveexec_b32 s0, s1
	s_cbranch_execz .LBB0_29
; %bb.28:
	v_mul_f32_e32 v12, v29, v11
	v_mul_f32_e32 v13, v27, v5
	;; [unrolled: 1-line block ×6, first 2 shown]
	v_fmac_f32_e32 v13, v26, v4
	v_fmac_f32_e32 v14, v24, v6
	;; [unrolled: 1-line block ×5, first 2 shown]
	v_mul_f32_e32 v20, v35, v121
	v_mul_f32_e32 v10, v29, v10
	;; [unrolled: 1-line block ×4, first 2 shown]
	v_fmac_f32_e32 v17, v34, v121
	v_sub_f32_e32 v18, v13, v14
	v_sub_f32_e32 v19, v15, v16
	v_fma_f32 v20, v34, v122, -v20
	v_fma_f32 v10, v28, v11, -v10
	v_mul_f32_e32 v6, v25, v6
	v_mul_f32_e32 v4, v27, v4
	v_fma_f32 v2, v32, v3, -v2
	v_fma_f32 v3, v30, v9, -v8
	v_sub_f32_e32 v21, v12, v17
	v_add_f32_e32 v8, v18, v19
	v_add_f32_e32 v9, v20, v10
	v_fma_f32 v6, v24, v7, -v6
	v_fma_f32 v4, v26, v5, -v4
	v_add_f32_e32 v5, v2, v3
	v_add_f32_e32 v7, v8, v21
	;; [unrolled: 1-line block ×7, first 2 shown]
	v_sub_f32_e32 v4, v4, v6
	v_add_f32_e32 v14, v15, v12
	v_sub_f32_e32 v24, v9, v8
	v_add_f32_e32 v11, v8, v11
	v_sub_f32_e32 v8, v8, v5
	v_sub_f32_e32 v22, v18, v19
	v_add_f32_e32 v14, v13, v14
	v_mul_f32_e32 v16, 0x3f4a47b2, v24
	v_add_f32_e32 v1, v1, v11
	v_sub_f32_e32 v24, v12, v13
	v_mul_f32_e32 v17, 0x3d64c772, v8
	v_sub_f32_e32 v13, v13, v15
	v_fmamk_f32 v8, v8, 0x3d64c772, v16
	v_fmamk_f32 v11, v11, 0xbf955555, v1
	v_mul_f32_e32 v6, 0x3f4a47b2, v24
	v_add_f32_e32 v0, v0, v14
	v_sub_f32_e32 v2, v3, v2
	v_sub_f32_e32 v10, v10, v20
	v_add_f32_e32 v20, v8, v11
	v_fmamk_f32 v8, v13, 0x3d64c772, v6
	v_fmamk_f32 v14, v14, 0xbf955555, v0
	v_sub_f32_e32 v19, v19, v21
	v_sub_f32_e32 v23, v21, v18
	;; [unrolled: 1-line block ×4, first 2 shown]
	v_add_f32_e32 v21, v8, v14
	v_add_f32_e32 v4, v4, v2
	v_mul_f32_e32 v8, 0xbf5ff5aa, v19
	v_sub_f32_e32 v2, v2, v10
	v_mul_f32_e32 v22, 0x3f08b237, v22
	v_mul_f32_e32 v25, 0x3f08b237, v3
	v_sub_f32_e32 v5, v5, v9
	v_add_f32_e32 v4, v4, v10
	v_fma_f32 v10, 0x3eae86e6, v23, -v8
	v_mul_f32_e32 v8, 0xbf5ff5aa, v2
	v_mul_f32_e32 v13, 0x3d64c772, v13
	v_sub_f32_e32 v9, v15, v12
	v_fmamk_f32 v18, v23, 0xbeae86e6, v22
	v_fmamk_f32 v26, v24, 0xbeae86e6, v25
	v_fma_f32 v12, 0xbf3bfb3b, v5, -v16
	v_fma_f32 v15, 0x3eae86e6, v24, -v8
	;; [unrolled: 1-line block ×7, first 2 shown]
	v_fmac_f32_e32 v18, 0xbee1c552, v7
	v_fmac_f32_e32 v26, 0xbee1c552, v4
	;; [unrolled: 1-line block ×3, first 2 shown]
	v_add_f32_e32 v12, v12, v11
	v_add_f32_e32 v11, v5, v11
	v_fmac_f32_e32 v8, 0xbee1c552, v7
	v_mov_b32_e32 v16, 3
	v_add_f32_e32 v6, v6, v14
	v_fmac_f32_e32 v15, 0xbee1c552, v4
	v_fmac_f32_e32 v2, 0xbee1c552, v4
	v_add_f32_e32 v14, v9, v14
	v_add_f32_e32 v5, v10, v12
	v_sub_f32_e32 v7, v11, v8
	v_add_f32_e32 v9, v8, v11
	v_sub_f32_e32 v11, v12, v10
	v_sub_f32_e32 v13, v20, v18
	v_add_f32_e32 v12, v26, v21
	v_lshlrev_b32_sdwa v16, v16, v140 dst_sel:DWORD dst_unused:UNUSED_PAD src0_sel:DWORD src1_sel:WORD_0
	v_sub_f32_e32 v8, v14, v2
	v_add_f32_e32 v10, v15, v6
	v_sub_f32_e32 v4, v6, v15
	v_add_f32_e32 v6, v2, v14
	v_add_f32_e32 v3, v18, v20
	v_sub_f32_e32 v2, v21, v26
	ds_write2_b64 v16, v[0:1], v[12:13] offset1:26
	ds_write2_b64 v16, v[10:11], v[8:9] offset0:52 offset1:78
	ds_write2_b64 v16, v[6:7], v[4:5] offset0:104 offset1:130
	ds_write_b64 v16, v[2:3] offset:1248
.LBB0_29:
	s_or_b32 exec_lo, exec_lo, s0
	s_waitcnt lgkmcnt(0)
	s_barrier
	buffer_gl0_inv
	ds_read2_b64 v[4:7], v133 offset1:182
	v_add_nc_u32_e32 v0, 0xa00, v133
	v_add_nc_u32_e32 v2, 0x1600, v133
	ds_read2_b64 v[8:11], v0 offset0:44 offset1:226
	ds_read2_b64 v[12:15], v2 offset0:24 offset1:206
	v_add_nc_u32_e32 v3, 0x2000, v133
	v_add_nc_u32_e32 v1, 0x2c00, v133
	ds_read2_b64 v[16:19], v3 offset0:68 offset1:250
	ds_read_b64 v[24:25], v133 offset:14560
	ds_read2_b64 v[20:23], v1 offset0:48 offset1:230
	s_mov_b32 s2, 0x27a3ee9c
	s_mov_b32 s3, 0x3f405e1d
	s_mul_i32 s1, s9, 0x3e9
	s_mul_hi_u32 s4, s8, 0x3e9
	s_add_i32 s1, s4, s1
	s_waitcnt lgkmcnt(5)
	v_mul_f32_e32 v26, v65, v7
	v_mul_f32_e32 v27, v65, v6
	v_fmac_f32_e32 v26, v64, v6
	v_fma_f32 v6, v64, v7, -v27
	s_waitcnt lgkmcnt(4)
	v_mul_f32_e32 v27, v67, v9
	v_mul_f32_e32 v7, v67, v8
	s_waitcnt lgkmcnt(3)
	v_mul_f32_e32 v30, v63, v13
	v_mul_f32_e32 v28, v61, v11
	v_mul_f32_e32 v29, v61, v10
	v_mul_f32_e32 v31, v63, v12
	v_fmac_f32_e32 v27, v66, v8
	v_fma_f32 v8, v66, v9, -v7
	v_fmac_f32_e32 v30, v62, v12
	v_add_f32_e32 v7, v4, v26
	v_add_f32_e32 v12, v5, v6
	v_mul_f32_e32 v32, v53, v15
	v_fmac_f32_e32 v28, v60, v10
	v_fma_f32 v9, v60, v11, -v29
	v_add_f32_e32 v7, v7, v27
	v_add_f32_e32 v12, v12, v8
	v_mul_f32_e32 v33, v53, v14
	v_fma_f32 v10, v62, v13, -v31
	v_fmac_f32_e32 v32, v52, v14
	s_waitcnt lgkmcnt(2)
	v_mul_f32_e32 v14, v55, v16
	v_add_f32_e32 v7, v7, v28
	v_add_f32_e32 v12, v12, v9
	v_mul_f32_e32 v11, v55, v17
	v_fma_f32 v13, v52, v15, -v33
	v_mul_f32_e32 v15, v49, v19
	v_fma_f32 v14, v54, v17, -v14
	s_waitcnt lgkmcnt(0)
	v_mul_f32_e32 v17, v51, v21
	v_add_f32_e32 v7, v7, v30
	v_add_f32_e32 v12, v12, v10
	v_fmac_f32_e32 v11, v54, v16
	v_mul_f32_e32 v16, v49, v18
	v_fmac_f32_e32 v15, v48, v18
	v_mul_f32_e32 v18, v51, v20
	v_fmac_f32_e32 v17, v50, v20
	v_add_f32_e32 v7, v7, v32
	v_add_f32_e32 v12, v12, v13
	v_mul_f32_e32 v20, v59, v24
	v_fma_f32 v16, v48, v19, -v16
	v_mul_f32_e32 v19, v57, v23
	v_fma_f32 v18, v50, v21, -v18
	v_add_f32_e32 v7, v7, v11
	v_add_f32_e32 v12, v12, v14
	v_mul_f32_e32 v21, v59, v25
	v_fma_f32 v20, v58, v25, -v20
	v_fmac_f32_e32 v19, v56, v22
	v_mul_f32_e32 v22, v57, v22
	v_add_f32_e32 v7, v7, v15
	v_add_f32_e32 v12, v12, v16
	v_fmac_f32_e32 v21, v58, v24
	v_sub_f32_e32 v24, v6, v20
	v_fma_f32 v22, v56, v23, -v22
	v_add_f32_e32 v7, v7, v17
	v_add_f32_e32 v12, v12, v18
	;; [unrolled: 1-line block ×3, first 2 shown]
	v_mul_f32_e32 v25, 0xbf0a6770, v24
	v_add_f32_e32 v29, v6, v20
	v_add_f32_e32 v6, v7, v19
	;; [unrolled: 1-line block ×3, first 2 shown]
	v_sub_f32_e32 v12, v26, v21
	v_fmamk_f32 v26, v23, 0x3f575c64, v25
	v_mul_f32_e32 v31, 0x3f575c64, v29
	v_mul_f32_e32 v33, 0x3ed4b147, v29
	v_add_f32_e32 v7, v7, v20
	v_mul_f32_e32 v36, 0xbf7d64f0, v24
	v_add_f32_e32 v20, v4, v26
	v_mul_f32_e32 v26, 0xbf68dda4, v24
	v_mul_f32_e32 v38, 0xbe11bafb, v29
	;; [unrolled: 1-line block ×6, first 2 shown]
	v_sub_f32_e32 v46, v8, v22
	v_add_f32_e32 v8, v8, v22
	v_add_f32_e32 v6, v6, v21
	v_fmamk_f32 v21, v12, 0x3f0a6770, v31
	v_fma_f32 v25, 0x3f575c64, v23, -v25
	v_fmac_f32_e32 v31, 0xbf0a6770, v12
	v_fmamk_f32 v34, v23, 0x3ed4b147, v26
	v_fmamk_f32 v35, v12, 0x3f68dda4, v33
	v_fma_f32 v26, 0x3ed4b147, v23, -v26
	v_fmac_f32_e32 v33, 0xbf68dda4, v12
	v_fmamk_f32 v37, v23, 0xbe11bafb, v36
	;; [unrolled: 4-line block ×4, first 2 shown]
	v_fmamk_f32 v45, v12, 0x3e903f40, v29
	v_add_f32_e32 v47, v27, v19
	v_mul_f32_e32 v22, 0xbf68dda4, v46
	v_fma_f32 v23, 0xbf75a155, v23, -v24
	v_fmac_f32_e32 v29, 0xbe903f40, v12
	v_sub_f32_e32 v12, v27, v19
	v_mul_f32_e32 v19, 0x3ed4b147, v8
	v_add_f32_e32 v21, v5, v21
	v_add_f32_e32 v25, v4, v25
	;; [unrolled: 1-line block ×9, first 2 shown]
	v_fmamk_f32 v24, v47, 0x3ed4b147, v22
	v_add_f32_e32 v4, v4, v23
	v_mul_f32_e32 v23, 0xbf4178ce, v46
	v_fmamk_f32 v27, v12, 0x3f68dda4, v19
	v_fma_f32 v22, 0x3ed4b147, v47, -v22
	v_add_f32_e32 v31, v5, v31
	v_add_f32_e32 v20, v24, v20
	v_fmac_f32_e32 v19, 0xbf68dda4, v12
	v_fmamk_f32 v24, v47, 0xbf27a4f4, v23
	v_add_f32_e32 v21, v27, v21
	v_mul_f32_e32 v27, 0xbf27a4f4, v8
	v_add_f32_e32 v22, v22, v25
	v_mul_f32_e32 v25, 0x3e903f40, v46
	v_add_f32_e32 v35, v5, v35
	v_add_f32_e32 v33, v5, v33
	;; [unrolled: 1-line block ×10, first 2 shown]
	v_fmamk_f32 v29, v12, 0x3f4178ce, v27
	v_fma_f32 v23, 0xbf27a4f4, v47, -v23
	v_fmac_f32_e32 v27, 0xbf4178ce, v12
	v_mul_f32_e32 v31, 0xbf75a155, v8
	v_fmamk_f32 v34, v47, 0xbf75a155, v25
	v_fma_f32 v25, 0xbf75a155, v47, -v25
	v_add_f32_e32 v23, v23, v26
	v_add_f32_e32 v26, v27, v33
	v_fmamk_f32 v27, v12, 0xbe903f40, v31
	v_add_f32_e32 v33, v34, v37
	v_mul_f32_e32 v34, 0x3f7d64f0, v46
	v_add_f32_e32 v25, v25, v36
	v_mul_f32_e32 v36, 0x3f0a6770, v46
	v_add_f32_e32 v29, v29, v35
	v_fmac_f32_e32 v31, 0x3e903f40, v12
	v_add_f32_e32 v27, v27, v40
	v_mul_f32_e32 v35, 0xbe11bafb, v8
	v_fmamk_f32 v37, v47, 0xbe11bafb, v34
	v_fma_f32 v34, 0xbe11bafb, v47, -v34
	v_fmamk_f32 v40, v47, 0x3f575c64, v36
	v_add_f32_e32 v31, v31, v38
	v_fmamk_f32 v38, v12, 0xbf7d64f0, v35
	v_fmac_f32_e32 v35, 0x3f7d64f0, v12
	v_mul_f32_e32 v8, 0x3f575c64, v8
	v_add_f32_e32 v34, v34, v39
	v_add_f32_e32 v39, v40, v44
	v_sub_f32_e32 v40, v9, v18
	v_add_f32_e32 v9, v9, v18
	v_add_f32_e32 v37, v37, v41
	;; [unrolled: 1-line block ×3, first 2 shown]
	v_fmamk_f32 v41, v12, 0xbf0a6770, v8
	v_fma_f32 v36, 0x3f575c64, v47, -v36
	v_add_f32_e32 v18, v28, v17
	v_mul_f32_e32 v42, 0xbf7d64f0, v40
	v_fmac_f32_e32 v8, 0x3f0a6770, v12
	v_sub_f32_e32 v12, v28, v17
	v_mul_f32_e32 v17, 0xbe11bafb, v9
	v_add_f32_e32 v28, v41, v45
	v_fmamk_f32 v41, v18, 0xbe11bafb, v42
	v_add_f32_e32 v4, v36, v4
	v_add_f32_e32 v5, v8, v5
	v_fmamk_f32 v8, v12, 0x3f7d64f0, v17
	v_mul_f32_e32 v36, 0x3e903f40, v40
	v_fmac_f32_e32 v17, 0xbf7d64f0, v12
	v_add_f32_e32 v20, v41, v20
	v_fma_f32 v41, 0xbe11bafb, v18, -v42
	v_add_f32_e32 v8, v8, v21
	v_fmamk_f32 v21, v18, 0xbf75a155, v36
	v_mul_f32_e32 v42, 0xbf75a155, v9
	v_add_f32_e32 v17, v17, v19
	v_mul_f32_e32 v19, 0x3f68dda4, v40
	v_add_f32_e32 v38, v38, v43
	v_add_f32_e32 v22, v41, v22
	;; [unrolled: 1-line block ×3, first 2 shown]
	v_fmamk_f32 v24, v12, 0xbe903f40, v42
	v_fma_f32 v36, 0xbf75a155, v18, -v36
	v_fmamk_f32 v41, v18, 0x3ed4b147, v19
	v_mul_f32_e32 v43, 0x3ed4b147, v9
	v_fma_f32 v19, 0x3ed4b147, v18, -v19
	v_add_f32_e32 v24, v24, v29
	v_add_f32_e32 v23, v36, v23
	v_add_f32_e32 v29, v41, v33
	v_fmamk_f32 v33, v12, 0xbf68dda4, v43
	v_mul_f32_e32 v36, 0xbf0a6770, v40
	v_mul_f32_e32 v40, 0xbf4178ce, v40
	v_fmac_f32_e32 v43, 0x3f68dda4, v12
	v_mul_f32_e32 v41, 0x3f575c64, v9
	v_add_f32_e32 v27, v33, v27
	v_fmamk_f32 v33, v18, 0x3f575c64, v36
	v_fma_f32 v36, 0x3f575c64, v18, -v36
	v_add_f32_e32 v19, v19, v25
	v_add_f32_e32 v25, v43, v31
	v_fmamk_f32 v31, v12, 0x3f0a6770, v41
	v_add_f32_e32 v33, v33, v37
	v_fmamk_f32 v37, v18, 0xbf27a4f4, v40
	v_add_f32_e32 v34, v36, v34
	v_sub_f32_e32 v36, v10, v16
	v_mul_f32_e32 v9, 0xbf27a4f4, v9
	v_add_f32_e32 v10, v10, v16
	v_add_f32_e32 v37, v37, v39
	;; [unrolled: 1-line block ×3, first 2 shown]
	v_mul_f32_e32 v16, 0xbf4178ce, v36
	v_fmac_f32_e32 v42, 0x3e903f40, v12
	v_fmac_f32_e32 v41, 0xbf0a6770, v12
	v_add_f32_e32 v31, v31, v38
	v_fmamk_f32 v38, v12, 0x3f4178ce, v9
	v_fma_f32 v18, 0xbf27a4f4, v18, -v40
	v_fmac_f32_e32 v9, 0xbf4178ce, v12
	v_sub_f32_e32 v12, v30, v15
	v_mul_f32_e32 v15, 0xbf27a4f4, v10
	v_fmamk_f32 v30, v39, 0xbf27a4f4, v16
	v_add_f32_e32 v4, v18, v4
	v_add_f32_e32 v5, v9, v5
	v_fma_f32 v16, 0xbf27a4f4, v39, -v16
	v_fmamk_f32 v9, v12, 0x3f4178ce, v15
	v_add_f32_e32 v18, v30, v20
	v_mul_f32_e32 v20, 0x3f7d64f0, v36
	v_fmac_f32_e32 v15, 0xbf4178ce, v12
	v_add_f32_e32 v26, v42, v26
	v_add_f32_e32 v8, v9, v8
	v_mul_f32_e32 v9, 0xbe11bafb, v10
	v_fmamk_f32 v30, v39, 0xbe11bafb, v20
	v_add_f32_e32 v15, v15, v17
	v_mul_f32_e32 v17, 0xbf0a6770, v36
	v_add_f32_e32 v16, v16, v22
	v_fmamk_f32 v22, v12, 0xbf7d64f0, v9
	v_add_f32_e32 v21, v30, v21
	v_fma_f32 v20, 0xbe11bafb, v39, -v20
	v_fmac_f32_e32 v9, 0x3f7d64f0, v12
	v_fmamk_f32 v30, v39, 0x3f575c64, v17
	v_add_f32_e32 v22, v22, v24
	v_mul_f32_e32 v24, 0x3f575c64, v10
	v_add_f32_e32 v20, v20, v23
	v_add_f32_e32 v23, v9, v26
	;; [unrolled: 1-line block ×3, first 2 shown]
	v_mul_f32_e32 v9, 0xbe903f40, v36
	v_fma_f32 v17, 0x3f575c64, v39, -v17
	v_mul_f32_e32 v30, 0xbf75a155, v10
	v_add_f32_e32 v35, v41, v35
	v_add_f32_e32 v28, v38, v28
	v_fmamk_f32 v29, v12, 0x3f0a6770, v24
	v_fmac_f32_e32 v24, 0xbf0a6770, v12
	v_fmamk_f32 v38, v39, 0xbf75a155, v9
	v_add_f32_e32 v17, v17, v19
	v_fmamk_f32 v19, v12, 0x3e903f40, v30
	v_mul_f32_e32 v10, 0x3ed4b147, v10
	v_fmac_f32_e32 v30, 0xbe903f40, v12
	v_add_f32_e32 v27, v29, v27
	v_add_f32_e32 v29, v24, v25
	;; [unrolled: 1-line block ×3, first 2 shown]
	v_mul_f32_e32 v25, 0x3f68dda4, v36
	v_fma_f32 v9, 0xbf75a155, v39, -v9
	v_fmamk_f32 v33, v12, 0xbf68dda4, v10
	v_sub_f32_e32 v36, v13, v14
	v_add_f32_e32 v30, v30, v35
	v_add_f32_e32 v35, v13, v14
	;; [unrolled: 1-line block ×3, first 2 shown]
	v_fmamk_f32 v31, v39, 0x3ed4b147, v25
	v_add_f32_e32 v34, v9, v34
	v_add_f32_e32 v28, v33, v28
	;; [unrolled: 1-line block ×3, first 2 shown]
	v_mul_f32_e32 v9, 0xbe903f40, v36
	v_fma_f32 v13, 0x3ed4b147, v39, -v25
	v_fmac_f32_e32 v10, 0x3f68dda4, v12
	v_sub_f32_e32 v25, v32, v11
	v_mul_f32_e32 v12, 0xbf75a155, v35
	v_add_f32_e32 v31, v31, v37
	v_fmamk_f32 v11, v33, 0xbf75a155, v9
	v_add_f32_e32 v32, v13, v4
	v_add_f32_e32 v37, v10, v5
	v_mul_f32_e32 v13, 0x3f0a6770, v36
	v_fmamk_f32 v5, v25, 0x3e903f40, v12
	v_fma_f32 v9, 0xbf75a155, v33, -v9
	v_fmac_f32_e32 v12, 0xbe903f40, v25
	v_mul_f32_e32 v14, 0x3f575c64, v35
	v_add_f32_e32 v4, v11, v18
	v_fmamk_f32 v10, v33, 0x3f575c64, v13
	v_add_f32_e32 v5, v5, v8
	v_add_f32_e32 v8, v9, v16
	;; [unrolled: 1-line block ×3, first 2 shown]
	v_fmamk_f32 v11, v25, 0xbf0a6770, v14
	v_mul_f32_e32 v15, 0xbf4178ce, v36
	v_fma_f32 v12, 0x3f575c64, v33, -v13
	v_mul_f32_e32 v38, 0xbf27a4f4, v35
	v_add_f32_e32 v10, v10, v21
	v_fmac_f32_e32 v14, 0x3f0a6770, v25
	v_add_f32_e32 v11, v11, v22
	v_fmamk_f32 v16, v33, 0xbf27a4f4, v15
	v_fma_f32 v21, 0xbf27a4f4, v33, -v15
	v_mul_f32_e32 v22, 0x3ed4b147, v35
	v_add_f32_e32 v12, v12, v20
	v_fmamk_f32 v18, v25, 0x3f4178ce, v38
	v_mul_f32_e32 v20, 0x3f68dda4, v36
	v_add_f32_e32 v13, v14, v23
	v_add_f32_e32 v14, v16, v26
	;; [unrolled: 1-line block ×3, first 2 shown]
	v_fmamk_f32 v17, v25, 0xbf68dda4, v22
	v_mul_f32_e32 v21, 0xbf7d64f0, v36
	v_mul_f32_e32 v26, 0xbe11bafb, v35
	v_add_f32_e32 v15, v18, v27
	v_fmamk_f32 v18, v33, 0x3ed4b147, v20
	v_add_f32_e32 v19, v17, v19
	v_fmac_f32_e32 v22, 0x3f68dda4, v25
	v_fmamk_f32 v17, v33, 0xbe11bafb, v21
	v_fmamk_f32 v23, v25, 0x3f7d64f0, v26
	v_fma_f32 v20, 0x3ed4b147, v33, -v20
	v_add_f32_e32 v18, v18, v24
	v_fma_f32 v24, 0xbe11bafb, v33, -v21
	v_fmac_f32_e32 v26, 0xbf7d64f0, v25
	v_fmac_f32_e32 v38, 0xbf4178ce, v25
	v_add_f32_e32 v21, v22, v30
	v_add_f32_e32 v22, v17, v31
	;; [unrolled: 1-line block ×7, first 2 shown]
	ds_write2_b64 v133, v[6:7], v[4:5] offset1:182
	ds_write2_b64 v0, v[10:11], v[14:15] offset0:44 offset1:226
	ds_write2_b64 v2, v[18:19], v[22:23] offset0:24 offset1:206
	;; [unrolled: 1-line block ×4, first 2 shown]
	ds_write_b64 v133, v[8:9] offset:14560
	s_waitcnt lgkmcnt(0)
	s_barrier
	buffer_gl0_inv
	ds_read2_b64 v[1:4], v133 offset1:182
	v_add_nc_u32_e32 v5, 0x1e00, v133
	v_mad_u64_u32 v[13:14], null, s10, v104, 0
	v_mad_u64_u32 v[15:16], null, s8, v134, 0
	ds_read2_b64 v[5:8], v5 offset0:41 offset1:223
	v_mad_u64_u32 v[17:18], null, s11, v104, v[14:15]
	s_waitcnt lgkmcnt(1)
	v_mul_f32_e32 v9, v114, v2
	v_mul_f32_e32 v10, v114, v1
	v_mul_f32_e32 v18, v110, v4
	v_mov_b32_e32 v14, v17
	v_mad_u64_u32 v[16:17], null, s9, v134, v[16:17]
	v_fmac_f32_e32 v9, v113, v1
	s_waitcnt lgkmcnt(0)
	v_mul_f32_e32 v11, v118, v6
	v_mul_f32_e32 v12, v118, v5
	v_fma_f32 v10, v113, v2, -v10
	v_fmac_f32_e32 v18, v109, v3
	v_cvt_f64_f32_e32 v[1:2], v9
	v_fmac_f32_e32 v11, v117, v5
	v_fma_f32 v12, v117, v6, -v12
	v_cvt_f64_f32_e32 v[9:10], v10
	v_cvt_f64_f32_e32 v[17:18], v18
	v_lshlrev_b64 v[13:14], 3, v[13:14]
	v_cvt_f64_f32_e32 v[5:6], v11
	v_cvt_f64_f32_e32 v[11:12], v12
	v_add_co_u32 v21, s0, s6, v13
	v_add_co_ci_u32_e64 v22, s0, s7, v14, s0
	v_mul_f64 v[1:2], v[1:2], s[2:3]
	v_mul_f64 v[9:10], v[9:10], s[2:3]
	;; [unrolled: 1-line block ×4, first 2 shown]
	v_cvt_f32_f64_e32 v19, v[1:2]
	v_mul_f32_e32 v1, v110, v3
	v_mul_f32_e32 v2, v116, v7
	v_cvt_f32_f64_e32 v20, v[9:10]
	v_lshlrev_b64 v[9:10], 3, v[15:16]
	v_fma_f32 v1, v109, v4, -v1
	v_mul_f32_e32 v4, v116, v8
	v_cvt_f32_f64_e32 v13, v[5:6]
	v_cvt_f32_f64_e32 v14, v[11:12]
	v_fma_f32 v5, v115, v8, -v2
	v_cvt_f64_f32_e32 v[15:16], v1
	v_fmac_f32_e32 v4, v115, v7
	ds_read2_b64 v[0:3], v0 offset0:44 offset1:226
	v_mul_f64 v[11:12], v[17:18], s[2:3]
	v_add_co_u32 v8, s0, v21, v9
	v_cvt_f64_f32_e32 v[17:18], v4
	v_add_co_ci_u32_e64 v9, s0, v22, v10, s0
	s_mul_i32 s0, s8, 0x3e9
	v_add_nc_u32_e32 v4, 0x2a00, v133
	s_lshl_b64 s[4:5], s[0:1], 3
	v_cvt_f64_f32_e32 v[21:22], v5
	v_add_co_u32 v23, s0, v8, s4
	v_add_co_ci_u32_e64 v24, s0, s5, v9, s0
	ds_read2_b64 v[4:7], v4 offset0:21 offset1:203
	global_store_dwordx2 v[8:9], v[19:20], off
	global_store_dwordx2 v[23:24], v[13:14], off
	s_mul_hi_u32 s0, s8, 0xfffffccd
	s_mul_i32 s1, s9, 0xfffffccd
	s_waitcnt lgkmcnt(1)
	v_mul_f32_e32 v13, v112, v0
	v_mul_f64 v[9:10], v[15:16], s[2:3]
	v_mul_f32_e32 v15, v112, v1
	v_cvt_f32_f64_e32 v8, v[11:12]
	v_mul_f32_e32 v25, v101, v3
	v_fma_f32 v19, v111, v1, -v13
	ds_read_b64 v[13:14], v133 offset:5824
	v_mul_f64 v[11:12], v[17:18], s[2:3]
	ds_read_b64 v[17:18], v133 offset:13832
	v_fmac_f32_e32 v15, v111, v0
	v_cvt_f64_f32_e32 v[19:20], v19
	v_mul_f32_e32 v26, v101, v2
	v_mul_f64 v[0:1], v[21:22], s[2:3]
	v_fmac_f32_e32 v25, v100, v2
	v_cvt_f64_f32_e32 v[15:16], v15
	s_waitcnt lgkmcnt(2)
	v_mul_f32_e32 v21, v99, v5
	v_mul_f32_e32 v22, v99, v4
	;; [unrolled: 1-line block ×3, first 2 shown]
	v_fma_f32 v26, v100, v3, -v26
	s_sub_i32 s0, s0, s8
	v_fmac_f32_e32 v21, v98, v4
	v_fma_f32 v4, v98, v5, -v22
	v_fmac_f32_e32 v27, v102, v6
	v_mul_f32_e32 v6, v103, v6
	s_add_i32 s1, s0, s1
	v_cvt_f64_f32_e32 v[2:3], v21
	s_waitcnt lgkmcnt(1)
	v_mul_f32_e32 v30, v106, v13
	v_mul_f32_e32 v29, v106, v14
	s_waitcnt lgkmcnt(0)
	v_mul_f32_e32 v31, v108, v18
	v_mul_f32_e32 v32, v108, v17
	v_cvt_f64_f32_e32 v[4:5], v4
	v_fma_f32 v6, v102, v7, -v6
	v_fma_f32 v30, v105, v14, -v30
	v_fmac_f32_e32 v29, v105, v13
	v_fmac_f32_e32 v31, v107, v17
	v_fma_f32 v32, v107, v18, -v32
	v_cvt_f64_f32_e32 v[21:22], v25
	v_cvt_f64_f32_e32 v[25:26], v26
	;; [unrolled: 1-line block ×8, first 2 shown]
	v_mul_f64 v[15:16], v[15:16], s[2:3]
	v_mul_f64 v[19:20], v[19:20], s[2:3]
	s_mul_i32 s0, s8, 0xfffffccd
	v_mul_f64 v[2:3], v[2:3], s[2:3]
	s_lshl_b64 s[6:7], s[0:1], 3
	v_cvt_f32_f64_e32 v9, v[9:10]
	v_cvt_f32_f64_e32 v10, v[11:12]
	;; [unrolled: 1-line block ×3, first 2 shown]
	v_mul_f64 v[4:5], v[4:5], s[2:3]
	v_add_co_u32 v23, s0, v23, s6
	v_add_co_ci_u32_e64 v24, s0, s7, v24, s0
	v_mul_f64 v[0:1], v[21:22], s[2:3]
	v_mul_f64 v[21:22], v[25:26], s[2:3]
	;; [unrolled: 1-line block ×8, first 2 shown]
	v_add_co_u32 v31, s0, v23, s4
	v_add_co_ci_u32_e64 v32, s0, s5, v24, s0
	v_cvt_f32_f64_e32 v14, v[15:16]
	v_cvt_f32_f64_e32 v15, v[19:20]
	v_add_co_u32 v19, s0, v31, s6
	v_add_co_ci_u32_e64 v20, s0, s7, v32, s0
	v_cvt_f32_f64_e32 v2, v[2:3]
	v_cvt_f32_f64_e32 v3, v[4:5]
	v_add_co_u32 v4, s0, v19, s4
	v_add_co_ci_u32_e64 v5, s0, s5, v20, s0
	v_cvt_f32_f64_e32 v33, v[0:1]
	v_add_co_u32 v16, s0, v4, s6
	v_cvt_f32_f64_e32 v34, v[21:22]
	v_cvt_f32_f64_e32 v21, v[25:26]
	v_cvt_f32_f64_e32 v22, v[6:7]
	v_cvt_f32_f64_e32 v7, v[17:18]
	v_add_co_ci_u32_e64 v17, s0, s7, v5, s0
	v_cvt_f32_f64_e32 v6, v[12:13]
	v_cvt_f32_f64_e32 v12, v[27:28]
	;; [unrolled: 1-line block ×3, first 2 shown]
	global_store_dwordx2 v[23:24], v[8:9], off
	v_add_co_u32 v8, s0, v16, s4
	v_add_co_ci_u32_e64 v9, s0, s5, v17, s0
	global_store_dwordx2 v[31:32], v[10:11], off
	v_add_co_u32 v10, s0, v8, s6
	v_add_co_ci_u32_e64 v11, s0, s7, v9, s0
	;; [unrolled: 3-line block ×3, first 2 shown]
	global_store_dwordx2 v[4:5], v[2:3], off
	global_store_dwordx2 v[16:17], v[33:34], off
	;; [unrolled: 1-line block ×5, first 2 shown]
	s_and_b32 exec_lo, exec_lo, vcc_lo
	s_cbranch_execz .LBB0_31
; %bb.30:
	s_clause 0x1
	global_load_dwordx2 v[2:3], v[96:97], off offset:1136
	global_load_dwordx2 v[4:5], v[119:120], off offset:952
	ds_read_b64 v[6:7], v133 offset:7280
	ds_read_b64 v[8:9], v133 offset:15288
	v_add_co_u32 v0, vcc_lo, v0, s6
	v_add_co_ci_u32_e32 v1, vcc_lo, s7, v1, vcc_lo
	s_waitcnt vmcnt(1) lgkmcnt(1)
	v_mul_f32_e32 v10, v7, v3
	v_mul_f32_e32 v3, v6, v3
	s_waitcnt vmcnt(0) lgkmcnt(0)
	v_mul_f32_e32 v11, v9, v5
	v_mul_f32_e32 v5, v8, v5
	v_fmac_f32_e32 v10, v6, v2
	v_fma_f32 v6, v2, v7, -v3
	v_fmac_f32_e32 v11, v8, v4
	v_fma_f32 v8, v4, v9, -v5
	v_cvt_f64_f32_e32 v[2:3], v10
	v_cvt_f64_f32_e32 v[4:5], v6
	;; [unrolled: 1-line block ×4, first 2 shown]
	v_mul_f64 v[2:3], v[2:3], s[2:3]
	v_mul_f64 v[4:5], v[4:5], s[2:3]
	;; [unrolled: 1-line block ×4, first 2 shown]
	v_cvt_f32_f64_e32 v2, v[2:3]
	v_cvt_f32_f64_e32 v3, v[4:5]
	v_cvt_f32_f64_e32 v4, v[6:7]
	v_cvt_f32_f64_e32 v5, v[8:9]
	v_add_co_u32 v6, vcc_lo, v0, s4
	v_add_co_ci_u32_e32 v7, vcc_lo, s5, v1, vcc_lo
	global_store_dwordx2 v[0:1], v[2:3], off
	global_store_dwordx2 v[6:7], v[4:5], off
.LBB0_31:
	s_endpgm
	.section	.rodata,"a",@progbits
	.p2align	6, 0x0
	.amdhsa_kernel bluestein_single_fwd_len2002_dim1_sp_op_CI_CI
		.amdhsa_group_segment_fixed_size 16016
		.amdhsa_private_segment_fixed_size 0
		.amdhsa_kernarg_size 104
		.amdhsa_user_sgpr_count 6
		.amdhsa_user_sgpr_private_segment_buffer 1
		.amdhsa_user_sgpr_dispatch_ptr 0
		.amdhsa_user_sgpr_queue_ptr 0
		.amdhsa_user_sgpr_kernarg_segment_ptr 1
		.amdhsa_user_sgpr_dispatch_id 0
		.amdhsa_user_sgpr_flat_scratch_init 0
		.amdhsa_user_sgpr_private_segment_size 0
		.amdhsa_wavefront_size32 1
		.amdhsa_uses_dynamic_stack 0
		.amdhsa_system_sgpr_private_segment_wavefront_offset 0
		.amdhsa_system_sgpr_workgroup_id_x 1
		.amdhsa_system_sgpr_workgroup_id_y 0
		.amdhsa_system_sgpr_workgroup_id_z 0
		.amdhsa_system_sgpr_workgroup_info 0
		.amdhsa_system_vgpr_workitem_id 0
		.amdhsa_next_free_vgpr 254
		.amdhsa_next_free_sgpr 16
		.amdhsa_reserve_vcc 1
		.amdhsa_reserve_flat_scratch 0
		.amdhsa_float_round_mode_32 0
		.amdhsa_float_round_mode_16_64 0
		.amdhsa_float_denorm_mode_32 3
		.amdhsa_float_denorm_mode_16_64 3
		.amdhsa_dx10_clamp 1
		.amdhsa_ieee_mode 1
		.amdhsa_fp16_overflow 0
		.amdhsa_workgroup_processor_mode 1
		.amdhsa_memory_ordered 1
		.amdhsa_forward_progress 0
		.amdhsa_shared_vgpr_count 0
		.amdhsa_exception_fp_ieee_invalid_op 0
		.amdhsa_exception_fp_denorm_src 0
		.amdhsa_exception_fp_ieee_div_zero 0
		.amdhsa_exception_fp_ieee_overflow 0
		.amdhsa_exception_fp_ieee_underflow 0
		.amdhsa_exception_fp_ieee_inexact 0
		.amdhsa_exception_int_div_zero 0
	.end_amdhsa_kernel
	.text
.Lfunc_end0:
	.size	bluestein_single_fwd_len2002_dim1_sp_op_CI_CI, .Lfunc_end0-bluestein_single_fwd_len2002_dim1_sp_op_CI_CI
                                        ; -- End function
	.section	.AMDGPU.csdata,"",@progbits
; Kernel info:
; codeLenInByte = 18440
; NumSgprs: 18
; NumVgprs: 254
; ScratchSize: 0
; MemoryBound: 0
; FloatMode: 240
; IeeeMode: 1
; LDSByteSize: 16016 bytes/workgroup (compile time only)
; SGPRBlocks: 2
; VGPRBlocks: 31
; NumSGPRsForWavesPerEU: 18
; NumVGPRsForWavesPerEU: 254
; Occupancy: 4
; WaveLimiterHint : 1
; COMPUTE_PGM_RSRC2:SCRATCH_EN: 0
; COMPUTE_PGM_RSRC2:USER_SGPR: 6
; COMPUTE_PGM_RSRC2:TRAP_HANDLER: 0
; COMPUTE_PGM_RSRC2:TGID_X_EN: 1
; COMPUTE_PGM_RSRC2:TGID_Y_EN: 0
; COMPUTE_PGM_RSRC2:TGID_Z_EN: 0
; COMPUTE_PGM_RSRC2:TIDIG_COMP_CNT: 0
	.text
	.p2alignl 6, 3214868480
	.fill 48, 4, 3214868480
	.type	__hip_cuid_e06b2e97c3e755de,@object ; @__hip_cuid_e06b2e97c3e755de
	.section	.bss,"aw",@nobits
	.globl	__hip_cuid_e06b2e97c3e755de
__hip_cuid_e06b2e97c3e755de:
	.byte	0                               ; 0x0
	.size	__hip_cuid_e06b2e97c3e755de, 1

	.ident	"AMD clang version 19.0.0git (https://github.com/RadeonOpenCompute/llvm-project roc-6.4.0 25133 c7fe45cf4b819c5991fe208aaa96edf142730f1d)"
	.section	".note.GNU-stack","",@progbits
	.addrsig
	.addrsig_sym __hip_cuid_e06b2e97c3e755de
	.amdgpu_metadata
---
amdhsa.kernels:
  - .args:
      - .actual_access:  read_only
        .address_space:  global
        .offset:         0
        .size:           8
        .value_kind:     global_buffer
      - .actual_access:  read_only
        .address_space:  global
        .offset:         8
        .size:           8
        .value_kind:     global_buffer
      - .actual_access:  read_only
        .address_space:  global
        .offset:         16
        .size:           8
        .value_kind:     global_buffer
      - .actual_access:  read_only
        .address_space:  global
        .offset:         24
        .size:           8
        .value_kind:     global_buffer
      - .actual_access:  read_only
        .address_space:  global
        .offset:         32
        .size:           8
        .value_kind:     global_buffer
      - .offset:         40
        .size:           8
        .value_kind:     by_value
      - .address_space:  global
        .offset:         48
        .size:           8
        .value_kind:     global_buffer
      - .address_space:  global
        .offset:         56
        .size:           8
        .value_kind:     global_buffer
      - .address_space:  global
        .offset:         64
        .size:           8
        .value_kind:     global_buffer
      - .address_space:  global
        .offset:         72
        .size:           8
        .value_kind:     global_buffer
      - .offset:         80
        .size:           4
        .value_kind:     by_value
      - .address_space:  global
        .offset:         88
        .size:           8
        .value_kind:     global_buffer
      - .address_space:  global
        .offset:         96
        .size:           8
        .value_kind:     global_buffer
    .group_segment_fixed_size: 16016
    .kernarg_segment_align: 8
    .kernarg_segment_size: 104
    .language:       OpenCL C
    .language_version:
      - 2
      - 0
    .max_flat_workgroup_size: 182
    .name:           bluestein_single_fwd_len2002_dim1_sp_op_CI_CI
    .private_segment_fixed_size: 0
    .sgpr_count:     18
    .sgpr_spill_count: 0
    .symbol:         bluestein_single_fwd_len2002_dim1_sp_op_CI_CI.kd
    .uniform_work_group_size: 1
    .uses_dynamic_stack: false
    .vgpr_count:     254
    .vgpr_spill_count: 0
    .wavefront_size: 32
    .workgroup_processor_mode: 1
amdhsa.target:   amdgcn-amd-amdhsa--gfx1030
amdhsa.version:
  - 1
  - 2
...

	.end_amdgpu_metadata
